;; amdgpu-corpus repo=ROCm/aiter kind=harvested arch=n/a opt=n/a

/root/src/amdgpu-assembly/repos/ROCm__aiter/hsa/gfx942/fmoe_2stages/fmoe_stage1_bf16_pertokenFp8_g1u1_48x64_3tg_pf2.co:	file format elf64-amdgpu

Disassembly of section .text:

0000000000002a00 <_ZN5aiter47fmoe_stage1_bf16_pertokenFp8_g1u1_48x64_3tg_pf2E>:
	s_and_b32 s1, s1, 0xffff                                   // 000000002A00: 8601FF01 0000FFFF
	s_load_dwordx2 s[8:9], s[0:1], 0x0                         // 000000002A08: C0060200 00000000
	s_load_dwordx2 s[20:21], s[0:1], 0x10                      // 000000002A10: C0060500 00000010
	s_load_dwordx2 s[24:25], s[0:1], 0x20                      // 000000002A18: C0060600 00000020
	s_load_dwordx2 s[48:49], s[0:1], 0x30                      // 000000002A20: C0060C00 00000030
	s_load_dwordx2 s[28:29], s[0:1], 0x40                      // 000000002A28: C0060700 00000040
	s_load_dwordx2 s[32:33], s[0:1], 0x50                      // 000000002A30: C0060800 00000050
	s_load_dwordx2 s[36:37], s[0:1], 0x60                      // 000000002A38: C0060900 00000060
	s_load_dwordx2 s[12:13], s[0:1], 0x70                      // 000000002A40: C0060300 00000070
	s_load_dwordx2 s[44:45], s[0:1], 0x80                      // 000000002A48: C0060B00 00000080
	s_mov_b32 s89, 0                                           // 000000002A50: BED90080
	s_load_dword s64, s[0:1], 0x90                             // 000000002A54: C0021000 00000090
	s_load_dword s65, s[0:1], 0xa0                             // 000000002A5C: C0021040 000000A0
	s_load_dword s66, s[0:1], 0xb0                             // 000000002A64: C0021080 000000B0
	s_load_dword s67, s[0:1], 0xc0                             // 000000002A6C: C00210C0 000000C0
	s_load_dword s68, s[0:1], 0xd0                             // 000000002A74: C0021100 000000D0
	s_load_dword s69, s[0:1], 0xe0                             // 000000002A7C: C0021140 000000E0
	s_load_dword s71, s[0:1], 0xf0                             // 000000002A84: C00211C0 000000F0
	s_load_dword s72, s[0:1], 0x100                            // 000000002A8C: C0021200 00000100
	s_load_dword s74, s[0:1], 0x110                            // 000000002A94: C0021280 00000110
	s_load_dword s76, s[0:1], 0x120                            // 000000002A9C: C0021300 00000120
	s_load_dword s56, s[0:1], 0x130                            // 000000002AA4: C0020E00 00000130
	s_load_dword s88, s[0:1], 0x140                            // 000000002AAC: C0021600 00000140
	s_load_dword s89, s[0:1], 0x150                            // 000000002AB4: C0021640 00000150
	v_lshrrev_b32_e32 v1, 10, v0                               // 000000002ABC: 2002008A
	v_lshrrev_b32_e32 v2, 10, v1                               // 000000002AC0: 2004028A
	v_and_b32_e32 v2, 0x3ff, v2                                // 000000002AC4: 260404FF 000003FF
	v_and_b32_e32 v1, 0x3ff, v1                                // 000000002ACC: 260202FF 000003FF
	v_and_b32_e32 v0, 0x3ff, v0                                // 000000002AD4: 260000FF 000003FF
	v_lshrrev_b32_e32 v3, 6, v0                                // 000000002ADC: 20060086
	v_and_b32_e32 v0, 63, v0                                   // 000000002AE0: 260000BF
	s_mov_b32 s2, s2                                           // 000000002AE4: BE820002
	s_mov_b32 s3, s3                                           // 000000002AE8: BE830003
	s_mov_b32 s4, s4                                           // 000000002AEC: BE840004
	v_readfirstlane_b32 s7, v3                                 // 000000002AF0: 7E0E0503
	s_waitcnt lgkmcnt(0)                                       // 000000002AF4: BF8CC07F
	s_and_b32 s49, s49, 0xffff                                 // 000000002AF8: 8631FF31 0000FFFF
	s_load_dword s48, s[48:49], 0x0                            // 000000002B00: C0020C18 00000000
	s_and_b32 s45, s45, 0xffff                                 // 000000002B08: 862DFF2D 0000FFFF
	s_and_b32 s9, s9, 0xffff                                   // 000000002B10: 8609FF09 0000FFFF
	s_mul_i32 s60, s66, s68                                    // 000000002B18: 923C4442
	s_mul_i32 s61, s66, 4                                      // 000000002B1C: 923D8442
	s_mov_b32 s22, s60                                         // 000000002B20: BE96003C
	s_mov_b32 s26, -16                                         // 000000002B24: BE9A00D0
	s_mov_b32 s30, s61                                         // 000000002B28: BE9E003D
	s_mov_b32 s14, 0xc0                                        // 000000002B2C: BE8E00FF 000000C0
	s_mov_b32 s38, -16                                         // 000000002B34: BEA600D0
	s_mov_b32 s10, -16                                         // 000000002B38: BE8A00D0
	s_mov_b32 s34, 0x100                                       // 000000002B3C: BEA200FF 00000100
	s_mov_b32 s23, 0x20000                                     // 000000002B44: BE9700FF 00020000
	s_mov_b32 s27, 0x20000                                     // 000000002B4C: BE9B00FF 00020000
	s_mov_b32 s31, 0x20000                                     // 000000002B54: BE9F00FF 00020000
	s_mov_b32 s35, 0x20000                                     // 000000002B5C: BEA300FF 00020000
	s_mov_b32 s15, 0x20000                                     // 000000002B64: BE8F00FF 00020000
	s_mov_b32 s39, 0x20000                                     // 000000002B6C: BEA700FF 00020000
	s_mov_b32 s11, 0x20000                                     // 000000002B74: BE8B00FF 00020000
	s_and_b32 s21, s21, 0xffff                                 // 000000002B7C: 8615FF15 0000FFFF
	s_and_b32 s25, s25, 0xffff                                 // 000000002B84: 8619FF19 0000FFFF
	s_and_b32 s29, s29, 0xffff                                 // 000000002B8C: 861DFF1D 0000FFFF
	s_and_b32 s33, s33, 0xffff                                 // 000000002B94: 8621FF21 0000FFFF
	s_and_b32 s13, s13, 0xffff                                 // 000000002B9C: 860DFF0D 0000FFFF
	s_and_b32 s37, s37, 0xffff                                 // 000000002BA4: 8625FF25 0000FFFF
	s_or_b32 s21, s21, 0x40000                                 // 000000002BAC: 8715FF15 00040000
	s_or_b32 s25, s25, 0x40000                                 // 000000002BB4: 8719FF19 00040000
	s_or_b32 s29, s29, 0x40000                                 // 000000002BBC: 871DFF1D 00040000
	s_or_b32 s33, s33, 0x40000                                 // 000000002BC4: 8721FF21 00040000
	s_or_b32 s13, s13, 0x40000                                 // 000000002BCC: 870DFF0D 00040000
	s_or_b32 s37, s37, 0x40000                                 // 000000002BD4: 8725FF25 00040000
	v_accvgpr_write_b32 a63, 0                                 // 000000002BDC: D3D9403F 18000080
	v_mov_b32_e32 v71, 0                                       // 000000002BE4: 7E8E0280
	s_waitcnt lgkmcnt(0)                                       // 000000002BE8: BF8CC07F
	s_mul_i32 s60, s3, 48                                      // 000000002BEC: 923CB003
	s_cmp_lt_i32 s60, s48                                      // 000000002BF0: BF04303C
	s_cbranch_scc0 label_0E4D                                  // 000000002BF4: BF840DCC
	s_mov_b32 s80, 0                                           // 000000002BF8: BED00080
	s_lshr_b32 s81, s64, s88                                   // 000000002BFC: 8F515840
	s_mul_i32 s60, s3, 4                                       // 000000002C00: 923C8403
	s_add_u32 s44, s60, s44                                    // 000000002C04: 802C2C3C
	s_addc_u32 s45, 0, s45                                     // 000000002C08: 822D2D80
	s_load_dword s5, s[44:45], 0x0                             // 000000002C0C: C0020156 00000000
	s_mul_i32 s60, s3, 48                                      // 000000002C14: 923CB003
	s_mul_i32 s60, 4, s60                                      // 000000002C18: 923C3C84
	s_add_u32 s12, s60, s12                                    // 000000002C1C: 800C0C3C
	s_addc_u32 s13, 0, s13                                     // 000000002C20: 820D0D80
	v_and_b32_e32 v4, 15, v0                                   // 000000002C24: 2608008F
	v_lshlrev_b32_e32 v4, 2, v4                                // 000000002C28: 24080882
	buffer_load_dword v28, v4, s[12:15], 0 offen               // 000000002C2C: E0501000 80031C04
	v_add_u32_e32 v4, 64, v4                                   // 000000002C34: 680808C0
	buffer_load_dword v29, v4, s[12:15], 0 offen               // 000000002C38: E0501000 80031D04
	v_add_u32_e32 v4, 64, v4                                   // 000000002C40: 680808C0
	buffer_load_dword v30, v4, s[12:15], 0 offen               // 000000002C44: E0501000 80031E04
	v_add_u32_e32 v4, 64, v4                                   // 000000002C4C: 680808C0
	s_mul_i32 s60, 4, s7                                       // 000000002C50: 923C0784
	v_lshlrev_b32_e32 v4, 4, v0                                // 000000002C54: 24080084
	v_add_u32_e32 v4, s60, v4                                  // 000000002C58: 6808083C
	buffer_load_dword v3, v4, s[12:15], 0 offen                // 000000002C5C: E0501000 80030304
	v_mov_b32_e32 v48, 0                                       // 000000002C64: 7E600280
	v_mov_b32_e32 v60, 0                                       // 000000002C68: 7E780280
	v_mov_b32_e32 v49, 0                                       // 000000002C6C: 7E620280
	v_mov_b32_e32 v61, 0                                       // 000000002C70: 7E7A0280
	v_mov_b32_e32 v50, 0                                       // 000000002C74: 7E640280
	v_mov_b32_e32 v62, 0                                       // 000000002C78: 7E7C0280
	v_mov_b32_e32 v51, 0                                       // 000000002C7C: 7E660280
	v_mov_b32_e32 v63, 0                                       // 000000002C80: 7E7E0280
	v_mov_b32_e32 v52, 0                                       // 000000002C84: 7E680280
	v_mov_b32_e32 v64, 0                                       // 000000002C88: 7E800280
	v_mov_b32_e32 v53, 0                                       // 000000002C8C: 7E6A0280
	v_mov_b32_e32 v65, 0                                       // 000000002C90: 7E820280
	v_mov_b32_e32 v54, 0                                       // 000000002C94: 7E6C0280
	v_mov_b32_e32 v66, 0                                       // 000000002C98: 7E840280
	v_mov_b32_e32 v55, 0                                       // 000000002C9C: 7E6E0280
	v_mov_b32_e32 v67, 0                                       // 000000002CA0: 7E860280
	v_mov_b32_e32 v56, 0                                       // 000000002CA4: 7E700280
	v_mov_b32_e32 v68, 0                                       // 000000002CA8: 7E880280
	v_mov_b32_e32 v57, 0                                       // 000000002CAC: 7E720280
	v_mov_b32_e32 v69, 0                                       // 000000002CB0: 7E8A0280
	v_mov_b32_e32 v58, 0                                       // 000000002CB4: 7E740280
	v_mov_b32_e32 v70, 0                                       // 000000002CB8: 7E8C0280
	v_mov_b32_e32 v59, 0                                       // 000000002CBC: 7E760280
	v_mov_b32_e32 v71, 0                                       // 000000002CC0: 7E8E0280
	s_mul_i32 s60, s2, 0x80                                    // 000000002CC4: 923CFF02 00000080
	s_cmp_eq_u32 s88, 0                                        // 000000002CCC: BF068058
	s_cselect_b32 s61, 1, 2                                    // 000000002CD0: 853D8281
	s_mul_i32 s60, s60, s61                                    // 000000002CD4: 923C3D3C
	s_mov_b32 s90, s8                                          // 000000002CD8: BEDA0008
	s_mov_b32 s91, s9                                          // 000000002CDC: BEDB0009
	s_add_u32 s8, s60, s8                                      // 000000002CE0: 8008083C
	s_addc_u32 s9, 0, s9                                       // 000000002CE4: 82090980
	v_lshrrev_b32_e32 v4, 4, v0                                // 000000002CE8: 20080084
	v_mul_lo_u32 v20, 34, v4                                   // 000000002CEC: D2850014 000208A2
	v_and_b32_e32 v4, 15, v0                                   // 000000002CF4: 2608008F
	v_mul_lo_u32 v5, 2, v4                                     // 000000002CF8: D2850005 00020882
	v_add_u32_e32 v20, v5, v20                                 // 000000002D00: 68282905
	s_mul_i32 s60, s7, 0x88                                    // 000000002D04: 923CFF07 00000088
	v_add_u32_e32 v20, s60, v20                                // 000000002D0C: 6828283C
	v_lshlrev_b32_e32 v20, 2, v20                              // 000000002D10: 24282882
	v_and_b32_e32 v4, 31, v0                                   // 000000002D14: 2608009F
	v_lshrrev_b32_e32 v4, 1, v4                                // 000000002D18: 20080881
	v_mul_lo_u32 v21, 34, v4                                   // 000000002D1C: D2850015 000208A2
	v_lshrrev_b32_e32 v4, 5, v0                                // 000000002D24: 20080085
	v_mul_lo_u32 v4, 8, v4                                     // 000000002D28: D2850004 00020888
	v_add_u32_e32 v21, v21, v4                                 // 000000002D30: 682A0915
	v_and_b32_e32 v5, 1, v0                                    // 000000002D34: 260A0081
	v_add_u32_e32 v21, v5, v21                                 // 000000002D38: 682A2B05
	s_mul_i32 s60, s7, 2                                       // 000000002D3C: 923C8207
	v_add_u32_e32 v21, s60, v21                                // 000000002D40: 682A2A3C
	v_lshlrev_b32_e32 v21, 2, v21                              // 000000002D44: 242A2A82
	s_mul_i32 s60, s7, 0x620                                   // 000000002D48: 923CFF07 00000620
	s_add_u32 s48, 0, s60                                      // 000000002D50: 80303C80
	s_add_u32 s49, 0x1880, s48                                 // 000000002D54: 803130FF 00001880
	v_lshrrev_b32_e32 v4, 4, v0                                // 000000002D5C: 20080084
	v_lshlrev_b32_e32 v5, 2, v4                                // 000000002D60: 240A0882
	v_and_b32_e32 v4, 15, v0                                   // 000000002D64: 2608008F
	v_lshrrev_b32_e32 v6, 2, v4                                // 000000002D68: 200C0882
	v_lshlrev_b32_e32 v6, 5, v6                                // 000000002D6C: 240C0C85
	v_add_u32_e32 v5, v6, v5                                   // 000000002D70: 680A0B06
	v_and_b32_e32 v4, 3, v0                                    // 000000002D74: 26080083
	v_mul_u32_u24_e32 v6, 0x188, v4                            // 000000002D78: 100C08FF 00000188
	v_add_u32_e32 v5, v6, v5                                   // 000000002D80: 680A0B06
	v_lshlrev_b32_e32 v2, 2, v5                                // 000000002D84: 24040A82
	s_waitcnt lgkmcnt(0)                                       // 000000002D88: BF8CC07F
	s_mul_i32 s60, s2, 64                                      // 000000002D8C: 923CC002
	s_mul_i32 s60, s60, s69                                    // 000000002D90: 923C453C
	s_mul_i32 s61, s5, s72                                     // 000000002D94: 923D4805
	s_add_u32 s60, s61, s60                                    // 000000002D98: 803C3C3D
	s_add_u32 s24, s60, s24                                    // 000000002D9C: 8018183C
	s_addc_u32 s25, 0, s25                                     // 000000002DA0: 82191980
	s_lshr_b32 s60, s64, s88                                   // 000000002DA4: 8F3C5840
	s_mul_i32 s60, s4, s60                                     // 000000002DA8: 923C3C04
	s_lshr_b32 s60, s60, 7                                     // 000000002DAC: 8F3C873C
	s_mul_i32 s60, s60, 0x800                                  // 000000002DB0: 923CFF3C 00000800
	s_add_u32 s24, s60, s24                                    // 000000002DB8: 8018183C
	s_addc_u32 s25, 0, s25                                     // 000000002DBC: 82191980
	s_lshr_b32 s60, s69, s88                                   // 000000002DC0: 8F3C5845
	s_mul_i32 s60, s4, s60                                     // 000000002DC4: 923C3C04
	s_add_u32 s20, s60, s20                                    // 000000002DC8: 8014143C
	s_addc_u32 s21, 0, s21                                     // 000000002DCC: 82151580
	s_mul_i32 s60, s7, 16                                      // 000000002DD0: 923C9007
	s_mul_i32 s60, s60, s69                                    // 000000002DD4: 923C453C
	v_lshlrev_b32_e32 v46, 4, v0                               // 000000002DD8: 245C0084
	v_add_u32_e32 v46, s60, v46                                // 000000002DDC: 685C5C3C
	s_mul_i32 s60, 64, s69                                     // 000000002DE0: 923C45C0
	s_mov_b32 s84, s24                                         // 000000002DE4: BED40018
	s_mov_b32 s85, s25                                         // 000000002DE8: BED50019
	s_mov_b32 s86, s26                                         // 000000002DEC: BED6001A
	s_mov_b32 s87, s27                                         // 000000002DF0: BED7001B
	s_mul_i32 s60, s69, s65                                    // 000000002DF4: 923C4145
	s_add_u32 s84, s60, s84                                    // 000000002DF8: 8054543C
	s_addc_u32 s85, 0, s85                                     // 000000002DFC: 82555580
	v_lshrrev_b32_e32 v4, 4, v0                                // 000000002E00: 20080084
	v_lshlrev_b32_e32 v5, 2, v4                                // 000000002E04: 240A0882
	v_and_b32_e32 v4, 15, v0                                   // 000000002E08: 2608008F
	v_lshrrev_b32_e32 v6, 2, v4                                // 000000002E0C: 200C0882
	v_lshlrev_b32_e32 v6, 6, v6                                // 000000002E10: 240C0C86
	v_add_u32_e32 v5, v6, v5                                   // 000000002E14: 680A0B06
	v_and_b32_e32 v4, 3, v0                                    // 000000002E18: 26080083
	v_add_u32_e32 v5, v4, v5                                   // 000000002E1C: 680A0B04
	v_lshlrev_b32_e32 v22, 2, v5                               // 000000002E20: 242C0A82
	s_mul_i32 s60, s7, 16                                      // 000000002E24: 923C9007
	s_mul_i32 s60, s60, 4                                      // 000000002E28: 923C843C
	v_add_u32_e32 v22, s60, v22                                // 000000002E2C: 682C2C3C
	s_mul_i32 s60, s2, 64                                      // 000000002E30: 923CC002
	s_mul_i32 s60, s60, 4                                      // 000000002E34: 923C843C
	s_mul_i32 s61, s5, s74                                     // 000000002E38: 923D4A05
	s_add_u32 s61, s61, s60                                    // 000000002E3C: 803D3C3D
	s_add_u32 s32, s61, s32                                    // 000000002E40: 8020203D
	s_addc_u32 s33, 0, s33                                     // 000000002E44: 82212180
	s_mov_b32 s57, 0x80                                        // 000000002E48: BEB900FF 00000080
	s_mov_b32 s58, 0x800                                       // 000000002E50: BEBA00FF 00000800
	s_mov_b32 s83, s58                                         // 000000002E58: BED3003A
	s_mov_b32 s52, 0x7060302                                   // 000000002E5C: BEB400FF 07060302
	s_mov_b32 s53, 0x400                                       // 000000002E64: BEB500FF 00000400
	s_mov_b32 s54, 0x40100                                     // 000000002E6C: BEB600FF 00040100
	s_mov_b32 s55, 0x4020100                                   // 000000002E74: BEB700FF 04020100
	s_mov_b32 s6, 0x3fb8aa3b                                   // 000000002E7C: BE8600FF 3FB8AA3B
	s_mov_b32 s78, 0xbd92220c                                  // 000000002E84: BECE00FF BD92220C
	s_mov_b32 s79, 0xbd92220c                                  // 000000002E8C: BECF00FF BD92220C
	s_mov_b32 m0, s48                                          // 000000002E94: BEFC0030
	v_mov_b32_e32 v1, 0xbfcc4231                               // 000000002E98: 7E0202FF BFCC4231
	v_mov_b32_e32 v17, 0xffff0000                              // 000000002EA0: 7E2202FF FFFF0000
	v_mov_b32_e32 v18, 0x7fff0000                              // 000000002EA8: 7E2402FF 7FFF0000
	v_mov_b32_e32 v19, 0x7fff                                  // 000000002EB0: 7E2602FF 00007FFF
	s_waitcnt vmcnt(0) expcnt(0) lgkmcnt(0)                    // 000000002EB8: BF8C0000
	v_lshrrev_b32_e32 v4, 5, v0                                // 000000002EBC: 20080085
	v_xor_b32_e32 v5, 1, v4                                    // 000000002EC0: 2A0A0881
	v_readlane_b32 s82, v3, 0                                  // 000000002EC4: D2890052 00010103
	s_and_b32 s82, s82, 0xffffff                               // 000000002ECC: 8652FF52 00FFFFFF
	v_mul_lo_u32 v6, v5, s82                                   // 000000002ED4: D2850006 0000A505
	v_readlane_b32 s82, v3, 1                                  // 000000002EDC: D2890052 00010303
	s_and_b32 s82, s82, 0xffffff                               // 000000002EE4: 8652FF52 00FFFFFF
	v_mul_lo_u32 v7, v4, s82                                   // 000000002EEC: D2850007 0000A504
	v_add_u32_e32 v40, v6, v7                                  // 000000002EF4: 68500F06
	v_mul_lo_u32 v40, v40, s68                                 // 000000002EF8: D2850028 00008928
	v_readlane_b32 s82, v3, 2                                  // 000000002F00: D2890052 00010503
	s_and_b32 s82, s82, 0xffffff                               // 000000002F08: 8652FF52 00FFFFFF
	v_mul_lo_u32 v6, v5, s82                                   // 000000002F10: D2850006 0000A505
	v_readlane_b32 s82, v3, 3                                  // 000000002F18: D2890052 00010703
	s_and_b32 s82, s82, 0xffffff                               // 000000002F20: 8652FF52 00FFFFFF
	v_mul_lo_u32 v7, v4, s82                                   // 000000002F28: D2850007 0000A504
	v_add_u32_e32 v41, v6, v7                                  // 000000002F30: 68520F06
	v_mul_lo_u32 v41, v41, s68                                 // 000000002F34: D2850029 00008929
	v_readlane_b32 s82, v3, 4                                  // 000000002F3C: D2890052 00010903
	s_and_b32 s82, s82, 0xffffff                               // 000000002F44: 8652FF52 00FFFFFF
	v_mul_lo_u32 v6, v5, s82                                   // 000000002F4C: D2850006 0000A505
	v_readlane_b32 s82, v3, 5                                  // 000000002F54: D2890052 00010B03
	s_and_b32 s82, s82, 0xffffff                               // 000000002F5C: 8652FF52 00FFFFFF
	v_mul_lo_u32 v7, v4, s82                                   // 000000002F64: D2850007 0000A504
	v_add_u32_e32 v42, v6, v7                                  // 000000002F6C: 68540F06
	v_mul_lo_u32 v42, v42, s68                                 // 000000002F70: D285002A 0000892A
	v_readlane_b32 s82, v3, 6                                  // 000000002F78: D2890052 00010D03
	s_and_b32 s82, s82, 0xffffff                               // 000000002F80: 8652FF52 00FFFFFF
	v_mul_lo_u32 v6, v5, s82                                   // 000000002F88: D2850006 0000A505
	v_readlane_b32 s82, v3, 7                                  // 000000002F90: D2890052 00010F03
	s_and_b32 s82, s82, 0xffffff                               // 000000002F98: 8652FF52 00FFFFFF
	v_mul_lo_u32 v7, v4, s82                                   // 000000002FA0: D2850007 0000A504
	v_add_u32_e32 v43, v6, v7                                  // 000000002FA8: 68560F06
	v_mul_lo_u32 v43, v43, s68                                 // 000000002FAC: D285002B 0000892B
	v_readlane_b32 s82, v3, 8                                  // 000000002FB4: D2890052 00011103
	s_and_b32 s82, s82, 0xffffff                               // 000000002FBC: 8652FF52 00FFFFFF
	v_mul_lo_u32 v6, v5, s82                                   // 000000002FC4: D2850006 0000A505
	v_readlane_b32 s82, v3, 9                                  // 000000002FCC: D2890052 00011303
	s_and_b32 s82, s82, 0xffffff                               // 000000002FD4: 8652FF52 00FFFFFF
	v_mul_lo_u32 v7, v4, s82                                   // 000000002FDC: D2850007 0000A504
	v_add_u32_e32 v44, v6, v7                                  // 000000002FE4: 68580F06
	v_mul_lo_u32 v44, v44, s68                                 // 000000002FE8: D285002C 0000892C
	v_readlane_b32 s82, v3, 10                                 // 000000002FF0: D2890052 00011503
	s_and_b32 s82, s82, 0xffffff                               // 000000002FF8: 8652FF52 00FFFFFF
	v_mul_lo_u32 v6, v5, s82                                   // 000000003000: D2850006 0000A505
	v_readlane_b32 s82, v3, 11                                 // 000000003008: D2890052 00011703
	s_and_b32 s82, s82, 0xffffff                               // 000000003010: 8652FF52 00FFFFFF
	v_mul_lo_u32 v7, v4, s82                                   // 000000003018: D2850007 0000A504
	v_add_u32_e32 v45, v6, v7                                  // 000000003020: 685A0F06
	v_mul_lo_u32 v45, v45, s68                                 // 000000003024: D285002D 0000892D
	v_and_b32_e32 v4, 31, v0                                   // 00000000302C: 2608009F
	v_lshlrev_b32_e32 v4, 2, v4                                // 000000003030: 24080882
	v_add_u32_e32 v40, v40, v4                                 // 000000003034: 68500928
	v_add_u32_e32 v41, v41, v4                                 // 000000003038: 68520929
	v_add_u32_e32 v42, v42, v4                                 // 00000000303C: 6854092A
	v_add_u32_e32 v43, v43, v4                                 // 000000003040: 6856092B
	v_add_u32_e32 v44, v44, v4                                 // 000000003044: 6858092C
	v_add_u32_e32 v45, v45, v4                                 // 000000003048: 685A092D
	v_and_b32_e32 v28, 0xffffff, v28                           // 00000000304C: 263838FF 00FFFFFF
	v_lshlrev_b32_e32 v28, 2, v28                              // 000000003054: 24383882
	v_and_b32_e32 v29, 0xffffff, v29                           // 000000003058: 263A3AFF 00FFFFFF
	v_lshlrev_b32_e32 v29, 2, v29                              // 000000003060: 243A3A82
	v_and_b32_e32 v30, 0xffffff, v30                           // 000000003064: 263C3CFF 00FFFFFF
	v_lshlrev_b32_e32 v30, 2, v30                              // 00000000306C: 243C3C82
	s_lshl_b32 s3, s66, 2                                      // 000000003070: 8E038242
	buffer_load_dword v31, v28, s[28:31], 0 offen              // 000000003074: E0501000 80071F1C
	buffer_load_dword v32, v29, s[28:31], 0 offen              // 00000000307C: E0501000 8007201D
	buffer_load_dword v33, v30, s[28:31], 0 offen              // 000000003084: E0501000 8007211E
	buffer_load_dword v24, v22, s[32:35], 0 offen              // 00000000308C: E0501000 80081816
	s_mul_i32 s60, 4, s65                                      // 000000003094: 923C4184
	s_add_u32 s32, s60, s32                                    // 000000003098: 8020203C
	s_addc_u32 s33, 0, s33                                     // 00000000309C: 82212180
	buffer_load_dword v26, v22, s[32:35], 0 offen              // 0000000030A0: E0501000 80081A16
	buffer_load_dword v40, s[20:23], 0 offen lds               // 0000000030A8: E0511000 80050028
	s_add_u32 m0, 0x100, s48                                   // 0000000030B0: 807C30FF 00000100
	buffer_load_dword v41, s[20:23], 0 offen lds               // 0000000030B8: E0511000 80050029
	s_add_u32 m0, 0x200, s48                                   // 0000000030C0: 807C30FF 00000200
	buffer_load_dword v42, s[20:23], 0 offen lds               // 0000000030C8: E0511000 8005002A
	s_add_u32 m0, 0x300, s48                                   // 0000000030D0: 807C30FF 00000300
	buffer_load_dword v43, s[20:23], 0 offen lds               // 0000000030D8: E0511000 8005002B
	s_add_u32 m0, 0x400, s48                                   // 0000000030E0: 807C30FF 00000400
	buffer_load_dword v44, s[20:23], 0 offen lds               // 0000000030E8: E0511000 8005002C
	s_add_u32 m0, 0x500, s48                                   // 0000000030F0: 807C30FF 00000500
	buffer_load_dword v45, s[20:23], 0 offen lds               // 0000000030F8: E0511000 8005002D
	s_add_u32 m0, 0, s49                                       // 000000003100: 807C3180
	s_add_u32 s20, s57, s20                                    // 000000003104: 80141439
	s_addc_u32 s21, 0, s21                                     // 000000003108: 82151580
	buffer_load_dword v40, s[20:23], 0 offen lds               // 00000000310C: E0511000 80050028
	s_add_u32 m0, 0x100, s49                                   // 000000003114: 807C31FF 00000100
	buffer_load_dword v41, s[20:23], 0 offen lds               // 00000000311C: E0511000 80050029
	s_add_u32 m0, 0x200, s49                                   // 000000003124: 807C31FF 00000200
	buffer_load_dword v42, s[20:23], 0 offen lds               // 00000000312C: E0511000 8005002A
	s_add_u32 m0, 0x300, s49                                   // 000000003134: 807C31FF 00000300
	buffer_load_dword v43, s[20:23], 0 offen lds               // 00000000313C: E0511000 8005002B
	s_add_u32 m0, 0x400, s49                                   // 000000003144: 807C31FF 00000400
	buffer_load_dword v44, s[20:23], 0 offen lds               // 00000000314C: E0511000 8005002C
	s_add_u32 m0, 0x500, s49                                   // 000000003154: 807C31FF 00000500
	buffer_load_dword v45, s[20:23], 0 offen lds               // 00000000315C: E0511000 8005002D
	s_add_u32 m0, 0, s48                                       // 000000003164: 807C3080
	s_add_u32 s20, s57, s20                                    // 000000003168: 80141439
	s_addc_u32 s21, 0, s21                                     // 00000000316C: 82151580
	buffer_load_dwordx4 a[48:51], v46, s[24:27], 0 offen       // 000000003170: E05C1000 8086302E
	buffer_load_dwordx4 a[52:55], v46, s[24:27], 0 offen offset:1024// 000000003178: E05C1400 8086342E
	s_add_u32 s24, s58, s24                                    // 000000003180: 8018183A
	s_addc_u32 s25, 0, s25                                     // 000000003184: 82191980
	s_waitcnt vmcnt(8)                                         // 000000003188: BF8C0F78
	s_barrier                                                  // 00000000318C: BF8A0000
	ds_read_b128 a[0:3], v2                                    // 000000003190: DBFE0000 00000002
	ds_read_b128 a[4:7], v2 offset:64                          // 000000003198: DBFE0040 04000002
	ds_read_b128 a[8:11], v2 offset:512                        // 0000000031A0: DBFE0200 08000002
	ds_read_b128 a[12:15], v2 offset:576                       // 0000000031A8: DBFE0240 0C000002
	ds_read_b128 a[16:19], v2 offset:1024                      // 0000000031B0: DBFE0400 10000002
	ds_read_b128 a[20:23], v2 offset:1088                      // 0000000031B8: DBFE0440 14000002
	s_cmp_lt_i32 s7, 2                                         // 0000000031C0: BF048207
	s_cbranch_scc0 label_0821                                  // 0000000031C4: BF84062C

00000000000031c8 <label_01F2>:
	s_waitcnt vmcnt(0) lgkmcnt(0)                              // 0000000031C8: BF8C0070
	s_barrier                                                  // 0000000031CC: BF8A0000
	v_mfma_f32_16x16x32_fp8_fp8 v[48:51], a[48:49], a[0:1], v[48:51]// 0000000031D0: D3F30030 1CC20130
	v_mfma_f32_16x16x32_fp8_fp8 v[48:51], a[50:51], a[2:3], v[48:51]// 0000000031D8: D3F30030 1CC20532
	buffer_load_dwordx4 a[56:59], v46, s[84:87], 0 offen       // 0000000031E0: E05C1000 8095382E
	v_mfma_f32_16x16x32_fp8_fp8 v[48:51], a[52:53], a[4:5], v[48:51]// 0000000031E8: D3F30030 1CC20934
	v_mfma_f32_16x16x32_fp8_fp8 v[48:51], a[54:55], a[6:7], v[48:51]// 0000000031F0: D3F30030 1CC20D36
	v_mfma_f32_16x16x32_fp8_fp8 v[52:55], a[48:49], a[8:9], v[52:55]// 0000000031F8: D3F30034 1CD21130
	v_mfma_f32_16x16x32_fp8_fp8 v[52:55], a[50:51], a[10:11], v[52:55]// 000000003200: D3F30034 1CD21532
	buffer_load_dwordx4 a[60:63], v46, s[84:87], 0 offen offset:1024// 000000003208: E05C1400 80953C2E
	buffer_load_dword v40, s[20:23], 0 offen lds               // 000000003210: E0511000 80050028
	s_add_u32 m0, 0x100, s48                                   // 000000003218: 807C30FF 00000100
	v_mfma_f32_16x16x32_fp8_fp8 v[52:55], a[52:53], a[12:13], v[52:55]// 000000003220: D3F30034 1CD21934
	v_mfma_f32_16x16x32_fp8_fp8 v[52:55], a[54:55], a[14:15], v[52:55]// 000000003228: D3F30034 1CD21D36
	buffer_load_dword v41, s[20:23], 0 offen lds               // 000000003230: E0511000 80050029
	s_add_u32 m0, 0x200, s48                                   // 000000003238: 807C30FF 00000200
	v_mfma_f32_16x16x32_fp8_fp8 v[56:59], a[48:49], a[16:17], v[56:59]// 000000003240: D3F30038 1CE22130
	v_mfma_f32_16x16x32_fp8_fp8 v[56:59], a[50:51], a[18:19], v[56:59]// 000000003248: D3F30038 1CE22532
	buffer_load_dword v42, s[20:23], 0 offen lds               // 000000003250: E0511000 8005002A
	s_add_u32 m0, 0x300, s48                                   // 000000003258: 807C30FF 00000300
	s_add_u32 s60, 0x80, s80                                   // 000000003260: 803C50FF 00000080
	s_cmp_lt_u32 s60, s81                                      // 000000003268: BF0A513C
	s_cselect_b32 s83, s83, 0                                  // 00000000326C: 85538053
	v_mfma_f32_16x16x32_fp8_fp8 v[56:59], a[52:53], a[20:21], v[56:59]// 000000003270: D3F30038 1CE22934
	v_mfma_f32_16x16x32_fp8_fp8 v[56:59], a[54:55], a[22:23], v[56:59]// 000000003278: D3F30038 1CE22D36
	buffer_load_dword v43, s[20:23], 0 offen lds               // 000000003280: E0511000 8005002B
	s_add_u32 m0, 0x400, s48                                   // 000000003288: 807C30FF 00000400
	buffer_load_dword v44, s[20:23], 0 offen lds               // 000000003290: E0511000 8005002C
	s_add_u32 m0, 0x500, s48                                   // 000000003298: 807C30FF 00000500
	buffer_load_dword v45, s[20:23], 0 offen lds               // 0000000032A0: E0511000 8005002D
	s_add_u32 m0, 0, s49                                       // 0000000032A8: 807C3180
	s_waitcnt vmcnt(6)                                         // 0000000032AC: BF8C0F76
	v_mfma_f32_16x16x32_fp8_fp8 v[60:63], a[56:57], a[0:1], v[60:63]// 0000000032B0: D3F3003C 1CF20138
	v_mfma_f32_16x16x32_fp8_fp8 v[60:63], a[58:59], a[2:3], v[60:63]// 0000000032B8: D3F3003C 1CF2053A
	buffer_load_dwordx4 a[48:51], v46, s[24:27], 0 offen       // 0000000032C0: E05C1000 8086302E
	v_mfma_f32_16x16x32_fp8_fp8 v[60:63], a[60:61], a[4:5], v[60:63]// 0000000032C8: D3F3003C 1CF2093C
	v_mfma_f32_16x16x32_fp8_fp8 v[60:63], a[62:63], a[6:7], v[60:63]// 0000000032D0: D3F3003C 1CF20D3E
	ds_read_b128 a[24:27], v2 offset:6272                      // 0000000032D8: DBFE1880 18000002
	ds_read_b128 a[28:31], v2 offset:6336                      // 0000000032E0: DBFE18C0 1C000002
	v_mfma_f32_16x16x32_fp8_fp8 v[64:67], a[56:57], a[8:9], v[64:67]// 0000000032E8: D3F30040 1D021138
	v_mfma_f32_16x16x32_fp8_fp8 v[64:67], a[58:59], a[10:11], v[64:67]// 0000000032F0: D3F30040 1D02153A
	buffer_load_dwordx4 a[52:55], v46, s[24:27], 0 offen offset:1024// 0000000032F8: E05C1400 8086342E
	v_mfma_f32_16x16x32_fp8_fp8 v[64:67], a[60:61], a[12:13], v[64:67]// 000000003300: D3F30040 1D02193C
	s_add_u32 s60, 0x180, s80                                  // 000000003308: 803C50FF 00000180
	s_cmp_lt_u32 s60, s81                                      // 000000003310: BF0A513C
	s_cselect_b32 s57, s57, 0                                  // 000000003314: 85398039
	v_mfma_f32_16x16x32_fp8_fp8 v[64:67], a[62:63], a[14:15], v[64:67]// 000000003318: D3F30040 1D021D3E
	ds_read_b128 a[32:35], v2 offset:6784                      // 000000003320: DBFE1A80 20000002
	ds_read_b128 a[36:39], v2 offset:6848                      // 000000003328: DBFE1AC0 24000002
	s_add_u32 s60, 0x100, s80                                  // 000000003330: 803C50FF 00000100
	s_cmp_lt_u32 s60, s81                                      // 000000003338: BF0A513C
	s_cselect_b32 s58, s58, 0                                  // 00000000333C: 853A803A
	v_mfma_f32_16x16x32_fp8_fp8 v[68:71], a[56:57], a[16:17], v[68:71]// 000000003340: D3F30044 1D122138
	s_add_u32 s24, s58, s24                                    // 000000003348: 8018183A
	s_addc_u32 s25, 0, s25                                     // 00000000334C: 82191980
	v_mfma_f32_16x16x32_fp8_fp8 v[68:71], a[58:59], a[18:19], v[68:71]// 000000003350: D3F30044 1D12253A
	s_add_u32 s20, s57, s20                                    // 000000003358: 80141439
	s_addc_u32 s21, 0, s21                                     // 00000000335C: 82151580
	v_mfma_f32_16x16x32_fp8_fp8 v[68:71], a[60:61], a[20:21], v[68:71]// 000000003360: D3F30044 1D12293C
	s_add_u32 s84, s83, s84                                    // 000000003368: 80545453
	s_addc_u32 s85, 0, s85                                     // 00000000336C: 82555580
	v_mfma_f32_16x16x32_fp8_fp8 v[68:71], a[62:63], a[22:23], v[68:71]// 000000003370: D3F30044 1D122D3E
	ds_read_b128 a[40:43], v2 offset:7296                      // 000000003378: DBFE1C80 28000002
	ds_read_b128 a[44:47], v2 offset:7360                      // 000000003380: DBFE1CC0 2C000002
	s_addk_i32 s80, 0x80                                       // 000000003388: B7500080
	s_cmp_lt_i32 s80, s81                                      // 00000000338C: BF045150
	s_cbranch_scc0 label_02D9                                  // 000000003390: BF840074
	s_waitcnt vmcnt(0) lgkmcnt(0)                              // 000000003394: BF8C0070
	s_barrier                                                  // 000000003398: BF8A0000
	v_mfma_f32_16x16x32_fp8_fp8 v[48:51], a[48:49], a[24:25], v[48:51]// 00000000339C: D3F30030 1CC23130
	v_mfma_f32_16x16x32_fp8_fp8 v[48:51], a[50:51], a[26:27], v[48:51]// 0000000033A4: D3F30030 1CC23532
	buffer_load_dwordx4 a[56:59], v46, s[84:87], 0 offen       // 0000000033AC: E05C1000 8095382E
	v_mfma_f32_16x16x32_fp8_fp8 v[48:51], a[52:53], a[28:29], v[48:51]// 0000000033B4: D3F30030 1CC23934
	v_mfma_f32_16x16x32_fp8_fp8 v[48:51], a[54:55], a[30:31], v[48:51]// 0000000033BC: D3F30030 1CC23D36
	v_mfma_f32_16x16x32_fp8_fp8 v[52:55], a[48:49], a[32:33], v[52:55]// 0000000033C4: D3F30034 1CD24130
	v_mfma_f32_16x16x32_fp8_fp8 v[52:55], a[50:51], a[34:35], v[52:55]// 0000000033CC: D3F30034 1CD24532
	buffer_load_dwordx4 a[60:63], v46, s[84:87], 0 offen offset:1024// 0000000033D4: E05C1400 80953C2E
	buffer_load_dword v40, s[20:23], 0 offen lds               // 0000000033DC: E0511000 80050028
	s_add_u32 m0, 0x100, s49                                   // 0000000033E4: 807C31FF 00000100
	v_mfma_f32_16x16x32_fp8_fp8 v[52:55], a[52:53], a[36:37], v[52:55]// 0000000033EC: D3F30034 1CD24934
	v_mfma_f32_16x16x32_fp8_fp8 v[52:55], a[54:55], a[38:39], v[52:55]// 0000000033F4: D3F30034 1CD24D36
	buffer_load_dword v41, s[20:23], 0 offen lds               // 0000000033FC: E0511000 80050029
	s_add_u32 m0, 0x200, s49                                   // 000000003404: 807C31FF 00000200
	v_mfma_f32_16x16x32_fp8_fp8 v[56:59], a[48:49], a[40:41], v[56:59]// 00000000340C: D3F30038 1CE25130
	v_mfma_f32_16x16x32_fp8_fp8 v[56:59], a[50:51], a[42:43], v[56:59]// 000000003414: D3F30038 1CE25532
	buffer_load_dword v42, s[20:23], 0 offen lds               // 00000000341C: E0511000 8005002A
	s_add_u32 m0, 0x300, s49                                   // 000000003424: 807C31FF 00000300
	s_add_u32 s60, 0x80, s80                                   // 00000000342C: 803C50FF 00000080
	s_cmp_lt_u32 s60, s81                                      // 000000003434: BF0A513C
	s_cselect_b32 s83, s83, 0                                  // 000000003438: 85538053
	v_mfma_f32_16x16x32_fp8_fp8 v[56:59], a[52:53], a[44:45], v[56:59]// 00000000343C: D3F30038 1CE25934
	v_mfma_f32_16x16x32_fp8_fp8 v[56:59], a[54:55], a[46:47], v[56:59]// 000000003444: D3F30038 1CE25D36
	buffer_load_dword v43, s[20:23], 0 offen lds               // 00000000344C: E0511000 8005002B
	s_add_u32 m0, 0x400, s49                                   // 000000003454: 807C31FF 00000400
	buffer_load_dword v44, s[20:23], 0 offen lds               // 00000000345C: E0511000 8005002C
	s_add_u32 m0, 0x500, s49                                   // 000000003464: 807C31FF 00000500
	buffer_load_dword v45, s[20:23], 0 offen lds               // 00000000346C: E0511000 8005002D
	s_add_u32 m0, 0, s48                                       // 000000003474: 807C3080
	s_waitcnt vmcnt(6)                                         // 000000003478: BF8C0F76
	v_mfma_f32_16x16x32_fp8_fp8 v[60:63], a[56:57], a[24:25], v[60:63]// 00000000347C: D3F3003C 1CF23138
	v_mfma_f32_16x16x32_fp8_fp8 v[60:63], a[58:59], a[26:27], v[60:63]// 000000003484: D3F3003C 1CF2353A
	buffer_load_dwordx4 a[48:51], v46, s[24:27], 0 offen       // 00000000348C: E05C1000 8086302E
	v_mfma_f32_16x16x32_fp8_fp8 v[60:63], a[60:61], a[28:29], v[60:63]// 000000003494: D3F3003C 1CF2393C
	v_mfma_f32_16x16x32_fp8_fp8 v[60:63], a[62:63], a[30:31], v[60:63]// 00000000349C: D3F3003C 1CF23D3E
	ds_read_b128 a[0:3], v2                                    // 0000000034A4: DBFE0000 00000002
	ds_read_b128 a[4:7], v2 offset:64                          // 0000000034AC: DBFE0040 04000002
	v_mfma_f32_16x16x32_fp8_fp8 v[64:67], a[56:57], a[32:33], v[64:67]// 0000000034B4: D3F30040 1D024138
	v_mfma_f32_16x16x32_fp8_fp8 v[64:67], a[58:59], a[34:35], v[64:67]// 0000000034BC: D3F30040 1D02453A
	buffer_load_dwordx4 a[52:55], v46, s[24:27], 0 offen offset:1024// 0000000034C4: E05C1400 8086342E
	v_mfma_f32_16x16x32_fp8_fp8 v[64:67], a[60:61], a[36:37], v[64:67]// 0000000034CC: D3F30040 1D02493C
	s_add_u32 s60, 0x180, s80                                  // 0000000034D4: 803C50FF 00000180
	s_cmp_lt_u32 s60, s81                                      // 0000000034DC: BF0A513C
	s_cselect_b32 s57, s57, 0                                  // 0000000034E0: 85398039
	v_mfma_f32_16x16x32_fp8_fp8 v[64:67], a[62:63], a[38:39], v[64:67]// 0000000034E4: D3F30040 1D024D3E
	ds_read_b128 a[8:11], v2 offset:512                        // 0000000034EC: DBFE0200 08000002
	ds_read_b128 a[12:15], v2 offset:576                       // 0000000034F4: DBFE0240 0C000002
	s_add_u32 s60, 0x100, s80                                  // 0000000034FC: 803C50FF 00000100
	s_cmp_lt_u32 s60, s81                                      // 000000003504: BF0A513C
	s_cselect_b32 s58, s58, 0                                  // 000000003508: 853A803A
	v_mfma_f32_16x16x32_fp8_fp8 v[68:71], a[56:57], a[40:41], v[68:71]// 00000000350C: D3F30044 1D125138
	s_add_u32 s24, s58, s24                                    // 000000003514: 8018183A
	s_addc_u32 s25, 0, s25                                     // 000000003518: 82191980
	v_mfma_f32_16x16x32_fp8_fp8 v[68:71], a[58:59], a[42:43], v[68:71]// 00000000351C: D3F30044 1D12553A
	s_add_u32 s20, s57, s20                                    // 000000003524: 80141439
	s_addc_u32 s21, 0, s21                                     // 000000003528: 82151580
	v_mfma_f32_16x16x32_fp8_fp8 v[68:71], a[60:61], a[44:45], v[68:71]// 00000000352C: D3F30044 1D12593C
	s_add_u32 s84, s83, s84                                    // 000000003534: 80545453
	s_addc_u32 s85, 0, s85                                     // 000000003538: 82555580
	v_mfma_f32_16x16x32_fp8_fp8 v[68:71], a[62:63], a[46:47], v[68:71]// 00000000353C: D3F30044 1D125D3E
	ds_read_b128 a[16:19], v2 offset:1024                      // 000000003544: DBFE0400 10000002
	ds_read_b128 a[20:23], v2 offset:1088                      // 00000000354C: DBFE0440 14000002
	s_addk_i32 s80, 0x80                                       // 000000003554: B7500080
	s_cmp_lt_i32 s80, s81                                      // 000000003558: BF045150
	s_cbranch_scc0 label_02D9                                  // 00000000355C: BF840001
	s_branch label_01F2                                        // 000000003560: BF82FF19

0000000000003564 <label_02D9>:
	v_mul_f32_dpp v48, v24, v48 row_newbcast:0 row_mask:0xf bank_mask:0xf// 000000003564: 0A6060FA FF015018
	v_mul_f32_dpp v49, v24, v49 row_newbcast:1 row_mask:0xf bank_mask:0xf// 00000000356C: 0A6262FA FF015118
	v_mul_f32_dpp v50, v24, v50 row_newbcast:2 row_mask:0xf bank_mask:0xf// 000000003574: 0A6464FA FF015218
	v_mul_f32_dpp v51, v24, v51 row_newbcast:3 row_mask:0xf bank_mask:0xf// 00000000357C: 0A6666FA FF015318
	v_mul_f32_dpp v52, v24, v52 row_newbcast:0 row_mask:0xf bank_mask:0xf// 000000003584: 0A6868FA FF015018
	v_mul_f32_dpp v53, v24, v53 row_newbcast:1 row_mask:0xf bank_mask:0xf// 00000000358C: 0A6A6AFA FF015118
	v_mul_f32_dpp v54, v24, v54 row_newbcast:2 row_mask:0xf bank_mask:0xf// 000000003594: 0A6C6CFA FF015218
	v_mul_f32_dpp v55, v24, v55 row_newbcast:3 row_mask:0xf bank_mask:0xf// 00000000359C: 0A6E6EFA FF015318
	v_mul_f32_dpp v56, v24, v56 row_newbcast:0 row_mask:0xf bank_mask:0xf// 0000000035A4: 0A7070FA FF015018
	v_mul_f32_dpp v57, v24, v57 row_newbcast:1 row_mask:0xf bank_mask:0xf// 0000000035AC: 0A7272FA FF015118
	v_mul_f32_dpp v58, v24, v58 row_newbcast:2 row_mask:0xf bank_mask:0xf// 0000000035B4: 0A7474FA FF015218
	v_mul_f32_dpp v59, v24, v59 row_newbcast:3 row_mask:0xf bank_mask:0xf// 0000000035BC: 0A7676FA FF015318
	v_mul_f32_dpp v60, v26, v60 row_newbcast:0 row_mask:0xf bank_mask:0xf// 0000000035C4: 0A7878FA FF01501A
	v_mul_f32_dpp v61, v26, v61 row_newbcast:1 row_mask:0xf bank_mask:0xf// 0000000035CC: 0A7A7AFA FF01511A
	v_mul_f32_dpp v62, v26, v62 row_newbcast:2 row_mask:0xf bank_mask:0xf// 0000000035D4: 0A7C7CFA FF01521A
	v_mul_f32_dpp v63, v26, v63 row_newbcast:3 row_mask:0xf bank_mask:0xf// 0000000035DC: 0A7E7EFA FF01531A
	v_mul_f32_dpp v64, v26, v64 row_newbcast:0 row_mask:0xf bank_mask:0xf// 0000000035E4: 0A8080FA FF01501A
	v_mul_f32_dpp v65, v26, v65 row_newbcast:1 row_mask:0xf bank_mask:0xf// 0000000035EC: 0A8282FA FF01511A
	v_mul_f32_dpp v66, v26, v66 row_newbcast:2 row_mask:0xf bank_mask:0xf// 0000000035F4: 0A8484FA FF01521A
	v_mul_f32_dpp v67, v26, v67 row_newbcast:3 row_mask:0xf bank_mask:0xf// 0000000035FC: 0A8686FA FF01531A
	v_mul_f32_dpp v68, v26, v68 row_newbcast:0 row_mask:0xf bank_mask:0xf// 000000003604: 0A8888FA FF01501A
	v_mul_f32_dpp v69, v26, v69 row_newbcast:1 row_mask:0xf bank_mask:0xf// 00000000360C: 0A8A8AFA FF01511A
	v_mul_f32_dpp v70, v26, v70 row_newbcast:2 row_mask:0xf bank_mask:0xf// 000000003614: 0A8C8CFA FF01521A
	v_mul_f32_dpp v71, v26, v71 row_newbcast:3 row_mask:0xf bank_mask:0xf// 00000000361C: 0A8E8EFA FF01531A
	v_mov_b32_e32 v4, v31                                      // 000000003624: 7E08031F
	v_mov_b32_e32 v5, v4                                       // 000000003628: 7E0A0304
	v_pk_mul_f32 v[48:49], v[4:5], v[48:49]                    // 00000000362C: D3B14030 18026104
	v_pk_mul_f32 v[60:61], v[4:5], v[60:61]                    // 000000003634: D3B1403C 18027904
	v_pk_mul_f32 v[50:51], v[4:5], v[50:51]                    // 00000000363C: D3B14032 18026504
	v_pk_mul_f32 v[62:63], v[4:5], v[62:63]                    // 000000003644: D3B1403E 18027D04
	v_mov_b32_e32 v4, v32                                      // 00000000364C: 7E080320
	v_mov_b32_e32 v5, v4                                       // 000000003650: 7E0A0304
	v_pk_mul_f32 v[52:53], v[4:5], v[52:53]                    // 000000003654: D3B14034 18026904
	v_pk_mul_f32 v[64:65], v[4:5], v[64:65]                    // 00000000365C: D3B14040 18028104
	v_pk_mul_f32 v[54:55], v[4:5], v[54:55]                    // 000000003664: D3B14036 18026D04
	v_pk_mul_f32 v[66:67], v[4:5], v[66:67]                    // 00000000366C: D3B14042 18028504
	v_mov_b32_e32 v4, v33                                      // 000000003674: 7E080321
	v_mov_b32_e32 v5, v4                                       // 000000003678: 7E0A0304
	v_pk_mul_f32 v[56:57], v[4:5], v[56:57]                    // 00000000367C: D3B14038 18027104
	v_pk_mul_f32 v[68:69], v[4:5], v[68:69]                    // 000000003684: D3B14044 18028904
	v_pk_mul_f32 v[58:59], v[4:5], v[58:59]                    // 00000000368C: D3B1403A 18027504
	v_pk_mul_f32 v[70:71], v[4:5], v[70:71]                    // 000000003694: D3B14046 18028D04
	s_cmp_eq_u32 s88, 0                                        // 00000000369C: BF068058
	s_cbranch_scc0 label_0578                                  // 0000000036A0: BF84024F
	s_cmp_eq_u32 s89, 0                                        // 0000000036A4: BF068059
	s_cbranch_scc1 label_03A8                                  // 0000000036A8: BF85007D
	v_mov_b32_e32 v8, v1                                       // 0000000036AC: 7E100301
	v_mov_b32_e32 v9, v1                                       // 0000000036B0: 7E120301
	s_mov_b32 s60, s6                                          // 0000000036B4: BEBC0006
	s_mov_b32 s61, s6                                          // 0000000036B8: BEBD0006
	v_pk_mul_f32 v[4:5], v[48:49], v[48:49]                    // 0000000036BC: D3B14004 18026130
	v_pk_mul_f32 v[6:7], v[50:51], v[50:51]                    // 0000000036C4: D3B14006 18026532
	v_pk_fma_f32 v[4:5], v[4:5], s[78:79], v[8:9]              // 0000000036CC: D3B04004 1C209D04
	v_pk_fma_f32 v[6:7], v[6:7], s[78:79], v[8:9]              // 0000000036D4: D3B04006 1C209D06
	v_pk_mul_f32 v[4:5], v[4:5], v[48:49]                      // 0000000036DC: D3B14004 18026104
	v_pk_mul_f32 v[6:7], v[6:7], v[50:51]                      // 0000000036E4: D3B14006 18026506
	v_pk_mul_f32 v[4:5], v[4:5], s[60:61]                      // 0000000036EC: D3B14004 18007904
	v_pk_mul_f32 v[6:7], v[6:7], s[60:61]                      // 0000000036F4: D3B14006 18007906
	v_exp_f32_e32 v4, v4                                       // 0000000036FC: 7E084104
	v_exp_f32_e32 v5, v5                                       // 000000003700: 7E0A4105
	v_exp_f32_e32 v6, v6                                       // 000000003704: 7E0C4106
	v_exp_f32_e32 v7, v7                                       // 000000003708: 7E0E4107
	v_add_f32_e64 v4, v4, 1.0                                  // 00000000370C: D1010004 0001E504
	v_add_f32_e64 v5, v5, 1.0                                  // 000000003714: D1010005 0001E505
	v_add_f32_e64 v6, v6, 1.0                                  // 00000000371C: D1010006 0001E506
	v_add_f32_e64 v7, v7, 1.0                                  // 000000003724: D1010007 0001E507
	v_rcp_f32_e32 v4, v4                                       // 00000000372C: 7E084504
	v_rcp_f32_e32 v5, v5                                       // 000000003730: 7E0A4505
	v_rcp_f32_e32 v6, v6                                       // 000000003734: 7E0C4506
	v_rcp_f32_e32 v7, v7                                       // 000000003738: 7E0E4507
	v_mul_f32_e32 v48, v48, v4                                 // 00000000373C: 0A600930
	v_mul_f32_e32 v49, v49, v5                                 // 000000003740: 0A620B31
	v_mul_f32_e32 v50, v50, v6                                 // 000000003744: 0A640D32
	v_mul_f32_e32 v51, v51, v7                                 // 000000003748: 0A660F33
	v_mul_f32_e32 v48, v48, v60                                // 00000000374C: 0A607930
	v_mul_f32_e32 v49, v49, v61                                // 000000003750: 0A627B31
	v_mul_f32_e32 v50, v50, v62                                // 000000003754: 0A647D32
	v_mul_f32_e32 v51, v51, v63                                // 000000003758: 0A667F33
	v_pk_mul_f32 v[4:5], v[52:53], v[52:53]                    // 00000000375C: D3B14004 18026934
	v_pk_mul_f32 v[6:7], v[54:55], v[54:55]                    // 000000003764: D3B14006 18026D36
	v_pk_fma_f32 v[4:5], v[4:5], s[78:79], v[8:9]              // 00000000376C: D3B04004 1C209D04
	v_pk_fma_f32 v[6:7], v[6:7], s[78:79], v[8:9]              // 000000003774: D3B04006 1C209D06
	v_pk_mul_f32 v[4:5], v[4:5], v[52:53]                      // 00000000377C: D3B14004 18026904
	v_pk_mul_f32 v[6:7], v[6:7], v[54:55]                      // 000000003784: D3B14006 18026D06
	v_pk_mul_f32 v[4:5], v[4:5], s[60:61]                      // 00000000378C: D3B14004 18007904
	v_pk_mul_f32 v[6:7], v[6:7], s[60:61]                      // 000000003794: D3B14006 18007906
	v_exp_f32_e32 v4, v4                                       // 00000000379C: 7E084104
	v_exp_f32_e32 v5, v5                                       // 0000000037A0: 7E0A4105
	v_exp_f32_e32 v6, v6                                       // 0000000037A4: 7E0C4106
	v_exp_f32_e32 v7, v7                                       // 0000000037A8: 7E0E4107
	v_add_f32_e64 v4, v4, 1.0                                  // 0000000037AC: D1010004 0001E504
	v_add_f32_e64 v5, v5, 1.0                                  // 0000000037B4: D1010005 0001E505
	v_add_f32_e64 v6, v6, 1.0                                  // 0000000037BC: D1010006 0001E506
	v_add_f32_e64 v7, v7, 1.0                                  // 0000000037C4: D1010007 0001E507
	v_rcp_f32_e32 v4, v4                                       // 0000000037CC: 7E084504
	v_rcp_f32_e32 v5, v5                                       // 0000000037D0: 7E0A4505
	v_rcp_f32_e32 v6, v6                                       // 0000000037D4: 7E0C4506
	v_rcp_f32_e32 v7, v7                                       // 0000000037D8: 7E0E4507
	v_mul_f32_e32 v52, v52, v4                                 // 0000000037DC: 0A680934
	v_mul_f32_e32 v53, v53, v5                                 // 0000000037E0: 0A6A0B35
	v_mul_f32_e32 v54, v54, v6                                 // 0000000037E4: 0A6C0D36
	v_mul_f32_e32 v55, v55, v7                                 // 0000000037E8: 0A6E0F37
	v_mul_f32_e32 v52, v52, v64                                // 0000000037EC: 0A688134
	v_mul_f32_e32 v53, v53, v65                                // 0000000037F0: 0A6A8335
	v_mul_f32_e32 v54, v54, v66                                // 0000000037F4: 0A6C8536
	v_mul_f32_e32 v55, v55, v67                                // 0000000037F8: 0A6E8737
	v_pk_mul_f32 v[4:5], v[56:57], v[56:57]                    // 0000000037FC: D3B14004 18027138
	v_pk_mul_f32 v[6:7], v[58:59], v[58:59]                    // 000000003804: D3B14006 1802753A
	v_pk_fma_f32 v[4:5], v[4:5], s[78:79], v[8:9]              // 00000000380C: D3B04004 1C209D04
	v_pk_fma_f32 v[6:7], v[6:7], s[78:79], v[8:9]              // 000000003814: D3B04006 1C209D06
	v_pk_mul_f32 v[4:5], v[4:5], v[56:57]                      // 00000000381C: D3B14004 18027104
	v_pk_mul_f32 v[6:7], v[6:7], v[58:59]                      // 000000003824: D3B14006 18027506
	v_pk_mul_f32 v[4:5], v[4:5], s[60:61]                      // 00000000382C: D3B14004 18007904
	v_pk_mul_f32 v[6:7], v[6:7], s[60:61]                      // 000000003834: D3B14006 18007906
	v_exp_f32_e32 v4, v4                                       // 00000000383C: 7E084104
	v_exp_f32_e32 v5, v5                                       // 000000003840: 7E0A4105
	v_exp_f32_e32 v6, v6                                       // 000000003844: 7E0C4106
	v_exp_f32_e32 v7, v7                                       // 000000003848: 7E0E4107
	v_add_f32_e64 v4, v4, 1.0                                  // 00000000384C: D1010004 0001E504
	v_add_f32_e64 v5, v5, 1.0                                  // 000000003854: D1010005 0001E505
	v_add_f32_e64 v6, v6, 1.0                                  // 00000000385C: D1010006 0001E506
	v_add_f32_e64 v7, v7, 1.0                                  // 000000003864: D1010007 0001E507
	v_rcp_f32_e32 v4, v4                                       // 00000000386C: 7E084504
	v_rcp_f32_e32 v5, v5                                       // 000000003870: 7E0A4505
	v_rcp_f32_e32 v6, v6                                       // 000000003874: 7E0C4506
	v_rcp_f32_e32 v7, v7                                       // 000000003878: 7E0E4507
	v_mul_f32_e32 v56, v56, v4                                 // 00000000387C: 0A700938
	v_mul_f32_e32 v57, v57, v5                                 // 000000003880: 0A720B39
	v_mul_f32_e32 v58, v58, v6                                 // 000000003884: 0A740D3A
	v_mul_f32_e32 v59, v59, v7                                 // 000000003888: 0A760F3B
	v_mul_f32_e32 v56, v56, v68                                // 00000000388C: 0A708938
	v_mul_f32_e32 v57, v57, v69                                // 000000003890: 0A728B39
	v_mul_f32_e32 v58, v58, v70                                // 000000003894: 0A748D3A
	v_mul_f32_e32 v59, v59, v71                                // 000000003898: 0A768F3B
	s_branch label_0408                                        // 00000000389C: BF820060

00000000000038a0 <label_03A8>:
	v_mul_f32_e64 v4, -v48, s6                                 // 0000000038A0: D1050004 20000D30
	v_mul_f32_e64 v5, -v49, s6                                 // 0000000038A8: D1050005 20000D31
	v_mul_f32_e64 v6, -v50, s6                                 // 0000000038B0: D1050006 20000D32
	v_mul_f32_e64 v7, -v51, s6                                 // 0000000038B8: D1050007 20000D33
	v_exp_f32_e32 v4, v4                                       // 0000000038C0: 7E084104
	v_exp_f32_e32 v5, v5                                       // 0000000038C4: 7E0A4105
	v_exp_f32_e32 v6, v6                                       // 0000000038C8: 7E0C4106
	v_exp_f32_e32 v7, v7                                       // 0000000038CC: 7E0E4107
	v_add_f32_e64 v4, v4, 1.0                                  // 0000000038D0: D1010004 0001E504
	v_add_f32_e64 v5, v5, 1.0                                  // 0000000038D8: D1010005 0001E505
	v_add_f32_e64 v6, v6, 1.0                                  // 0000000038E0: D1010006 0001E506
	v_add_f32_e64 v7, v7, 1.0                                  // 0000000038E8: D1010007 0001E507
	v_rcp_f32_e32 v4, v4                                       // 0000000038F0: 7E084504
	v_rcp_f32_e32 v5, v5                                       // 0000000038F4: 7E0A4505
	v_rcp_f32_e32 v6, v6                                       // 0000000038F8: 7E0C4506
	v_rcp_f32_e32 v7, v7                                       // 0000000038FC: 7E0E4507
	v_mul_f32_e32 v48, v48, v4                                 // 000000003900: 0A600930
	v_mul_f32_e32 v49, v49, v5                                 // 000000003904: 0A620B31
	v_mul_f32_e32 v50, v50, v6                                 // 000000003908: 0A640D32
	v_mul_f32_e32 v51, v51, v7                                 // 00000000390C: 0A660F33
	v_mul_f32_e32 v48, v48, v60                                // 000000003910: 0A607930
	v_mul_f32_e32 v49, v49, v61                                // 000000003914: 0A627B31
	v_mul_f32_e32 v50, v50, v62                                // 000000003918: 0A647D32
	v_mul_f32_e32 v51, v51, v63                                // 00000000391C: 0A667F33
	v_mul_f32_e64 v4, -v52, s6                                 // 000000003920: D1050004 20000D34
	v_mul_f32_e64 v5, -v53, s6                                 // 000000003928: D1050005 20000D35
	v_mul_f32_e64 v6, -v54, s6                                 // 000000003930: D1050006 20000D36
	v_mul_f32_e64 v7, -v55, s6                                 // 000000003938: D1050007 20000D37
	v_exp_f32_e32 v4, v4                                       // 000000003940: 7E084104
	v_exp_f32_e32 v5, v5                                       // 000000003944: 7E0A4105
	v_exp_f32_e32 v6, v6                                       // 000000003948: 7E0C4106
	v_exp_f32_e32 v7, v7                                       // 00000000394C: 7E0E4107
	v_add_f32_e64 v4, v4, 1.0                                  // 000000003950: D1010004 0001E504
	v_add_f32_e64 v5, v5, 1.0                                  // 000000003958: D1010005 0001E505
	v_add_f32_e64 v6, v6, 1.0                                  // 000000003960: D1010006 0001E506
	v_add_f32_e64 v7, v7, 1.0                                  // 000000003968: D1010007 0001E507
	v_rcp_f32_e32 v4, v4                                       // 000000003970: 7E084504
	v_rcp_f32_e32 v5, v5                                       // 000000003974: 7E0A4505
	v_rcp_f32_e32 v6, v6                                       // 000000003978: 7E0C4506
	v_rcp_f32_e32 v7, v7                                       // 00000000397C: 7E0E4507
	v_mul_f32_e32 v52, v52, v4                                 // 000000003980: 0A680934
	v_mul_f32_e32 v53, v53, v5                                 // 000000003984: 0A6A0B35
	v_mul_f32_e32 v54, v54, v6                                 // 000000003988: 0A6C0D36
	v_mul_f32_e32 v55, v55, v7                                 // 00000000398C: 0A6E0F37
	v_mul_f32_e32 v52, v52, v64                                // 000000003990: 0A688134
	v_mul_f32_e32 v53, v53, v65                                // 000000003994: 0A6A8335
	v_mul_f32_e32 v54, v54, v66                                // 000000003998: 0A6C8536
	v_mul_f32_e32 v55, v55, v67                                // 00000000399C: 0A6E8737
	v_mul_f32_e64 v4, -v56, s6                                 // 0000000039A0: D1050004 20000D38
	v_mul_f32_e64 v5, -v57, s6                                 // 0000000039A8: D1050005 20000D39
	v_mul_f32_e64 v6, -v58, s6                                 // 0000000039B0: D1050006 20000D3A
	v_mul_f32_e64 v7, -v59, s6                                 // 0000000039B8: D1050007 20000D3B
	v_exp_f32_e32 v4, v4                                       // 0000000039C0: 7E084104
	v_exp_f32_e32 v5, v5                                       // 0000000039C4: 7E0A4105
	v_exp_f32_e32 v6, v6                                       // 0000000039C8: 7E0C4106
	v_exp_f32_e32 v7, v7                                       // 0000000039CC: 7E0E4107
	v_add_f32_e64 v4, v4, 1.0                                  // 0000000039D0: D1010004 0001E504
	v_add_f32_e64 v5, v5, 1.0                                  // 0000000039D8: D1010005 0001E505
	v_add_f32_e64 v6, v6, 1.0                                  // 0000000039E0: D1010006 0001E506
	v_add_f32_e64 v7, v7, 1.0                                  // 0000000039E8: D1010007 0001E507
	v_rcp_f32_e32 v4, v4                                       // 0000000039F0: 7E084504
	v_rcp_f32_e32 v5, v5                                       // 0000000039F4: 7E0A4505
	v_rcp_f32_e32 v6, v6                                       // 0000000039F8: 7E0C4506
	v_rcp_f32_e32 v7, v7                                       // 0000000039FC: 7E0E4507
	v_mul_f32_e32 v56, v56, v4                                 // 000000003A00: 0A700938
	v_mul_f32_e32 v57, v57, v5                                 // 000000003A04: 0A720B39
	v_mul_f32_e32 v58, v58, v6                                 // 000000003A08: 0A740D3A
	v_mul_f32_e32 v59, v59, v7                                 // 000000003A0C: 0A760F3B
	v_mul_f32_e32 v56, v56, v68                                // 000000003A10: 0A708938
	v_mul_f32_e32 v57, v57, v69                                // 000000003A14: 0A728B39
	v_mul_f32_e32 v58, v58, v70                                // 000000003A18: 0A748D3A
	v_mul_f32_e32 v59, v59, v71                                // 000000003A1C: 0A768F3B

0000000000003a20 <label_0408>:
	v_cmp_u_f32_e64 s[46:47], v48, v48                         // 000000003A20: D048002E 00026130
	v_add3_u32 v16, v48, v19, 1                                // 000000003A28: D1FF0010 02062730
	v_cndmask_b32_e64 v4, v16, v18, s[46:47]                   // 000000003A30: D1000004 00BA2510
	v_cmp_u_f32_e64 s[46:47], v49, v49                         // 000000003A38: D048002E 00026331
	v_add3_u32 v16, v49, v19, 1                                // 000000003A40: D1FF0010 02062731
	v_cndmask_b32_e64 v5, v16, v18, s[46:47]                   // 000000003A48: D1000005 00BA2510
	v_perm_b32 v48, v5, v4, s52                                // 000000003A50: D1ED0030 00D20905
	v_cmp_u_f32_e64 s[46:47], v50, v50                         // 000000003A58: D048002E 00026532
	v_add3_u32 v16, v50, v19, 1                                // 000000003A60: D1FF0010 02062732
	v_cndmask_b32_e64 v4, v16, v18, s[46:47]                   // 000000003A68: D1000004 00BA2510
	v_cmp_u_f32_e64 s[46:47], v51, v51                         // 000000003A70: D048002E 00026733
	v_add3_u32 v16, v51, v19, 1                                // 000000003A78: D1FF0010 02062733
	v_cndmask_b32_e64 v5, v16, v18, s[46:47]                   // 000000003A80: D1000005 00BA2510
	v_perm_b32 v49, v5, v4, s52                                // 000000003A88: D1ED0031 00D20905
	v_cmp_u_f32_e64 s[46:47], v52, v52                         // 000000003A90: D048002E 00026934
	v_add3_u32 v16, v52, v19, 1                                // 000000003A98: D1FF0010 02062734
	v_cndmask_b32_e64 v4, v16, v18, s[46:47]                   // 000000003AA0: D1000004 00BA2510
	v_cmp_u_f32_e64 s[46:47], v53, v53                         // 000000003AA8: D048002E 00026B35
	v_add3_u32 v16, v53, v19, 1                                // 000000003AB0: D1FF0010 02062735
	v_cndmask_b32_e64 v5, v16, v18, s[46:47]                   // 000000003AB8: D1000005 00BA2510
	v_perm_b32 v50, v5, v4, s52                                // 000000003AC0: D1ED0032 00D20905
	v_cmp_u_f32_e64 s[46:47], v54, v54                         // 000000003AC8: D048002E 00026D36
	v_add3_u32 v16, v54, v19, 1                                // 000000003AD0: D1FF0010 02062736
	v_cndmask_b32_e64 v4, v16, v18, s[46:47]                   // 000000003AD8: D1000004 00BA2510
	v_cmp_u_f32_e64 s[46:47], v55, v55                         // 000000003AE0: D048002E 00026F37
	v_add3_u32 v16, v55, v19, 1                                // 000000003AE8: D1FF0010 02062737
	v_cndmask_b32_e64 v5, v16, v18, s[46:47]                   // 000000003AF0: D1000005 00BA2510
	v_perm_b32 v51, v5, v4, s52                                // 000000003AF8: D1ED0033 00D20905
	v_cmp_u_f32_e64 s[46:47], v56, v56                         // 000000003B00: D048002E 00027138
	v_add3_u32 v16, v56, v19, 1                                // 000000003B08: D1FF0010 02062738
	v_cndmask_b32_e64 v4, v16, v18, s[46:47]                   // 000000003B10: D1000004 00BA2510
	v_cmp_u_f32_e64 s[46:47], v57, v57                         // 000000003B18: D048002E 00027339
	v_add3_u32 v16, v57, v19, 1                                // 000000003B20: D1FF0010 02062739
	v_cndmask_b32_e64 v5, v16, v18, s[46:47]                   // 000000003B28: D1000005 00BA2510
	v_perm_b32 v52, v5, v4, s52                                // 000000003B30: D1ED0034 00D20905
	v_cmp_u_f32_e64 s[46:47], v58, v58                         // 000000003B38: D048002E 0002753A
	v_add3_u32 v16, v58, v19, 1                                // 000000003B40: D1FF0010 0206273A
	v_cndmask_b32_e64 v4, v16, v18, s[46:47]                   // 000000003B48: D1000004 00BA2510
	v_cmp_u_f32_e64 s[46:47], v59, v59                         // 000000003B50: D048002E 0002773B
	v_add3_u32 v16, v59, v19, 1                                // 000000003B58: D1FF0010 0206273B
	v_cndmask_b32_e64 v5, v16, v18, s[46:47]                   // 000000003B60: D1000005 00BA2510
	v_perm_b32 v53, v5, v4, s52                                // 000000003B68: D1ED0035 00D20905
	ds_write_b64 v20, v[48:49]                                 // 000000003B70: D89A0000 00003014
	ds_write_b64 v20, v[50:51] offset:2176                     // 000000003B78: D89A0880 00003214
	ds_write_b64 v20, v[52:53] offset:4352                     // 000000003B80: D89A1100 00003414
	v_lshrrev_b32_e32 v4, 5, v0                                // 000000003B88: 20080085
	v_xor_b32_e32 v5, 1, v4                                    // 000000003B8C: 2A0A0881
	s_mul_i32 s60, s65, 2                                      // 000000003B90: 923C8241
	s_cmp_eq_u32 s88, 0                                        // 000000003B94: BF068058
	s_cselect_b32 s61, 1, 4                                    // 000000003B98: 853D8481
	s_mul_i32 s60, s61, s60                                    // 000000003B9C: 923C3C3D
	v_readlane_b32 s82, v3, 0                                  // 000000003BA0: D2890052 00010103
	s_lshr_b32 s61, s82, 24                                    // 000000003BA8: 8F3D9852
	s_and_b32 s82, s82, 0xffffff                               // 000000003BAC: 8652FF52 00FFFFFF
	s_mul_i32 s82, s82, s71                                    // 000000003BB4: 92524752
	s_mul_i32 s61, s60, s61                                    // 000000003BB8: 923D3D3C
	s_add_u32 s82, s82, s61                                    // 000000003BBC: 80523D52
	v_mul_lo_u32 v6, v5, s82                                   // 000000003BC0: D2850006 0000A505
	v_readlane_b32 s82, v3, 1                                  // 000000003BC8: D2890052 00010303
	s_lshr_b32 s61, s82, 24                                    // 000000003BD0: 8F3D9852
	s_and_b32 s82, s82, 0xffffff                               // 000000003BD4: 8652FF52 00FFFFFF
	s_mul_i32 s82, s82, s71                                    // 000000003BDC: 92524752
	s_mul_i32 s61, s60, s61                                    // 000000003BE0: 923D3D3C
	s_add_u32 s82, s82, s61                                    // 000000003BE4: 80523D52
	v_mul_lo_u32 v7, v4, s82                                   // 000000003BE8: D2850007 0000A504
	v_add_u32_e32 v40, v6, v7                                  // 000000003BF0: 68500F06
	v_readlane_b32 s82, v3, 2                                  // 000000003BF4: D2890052 00010503
	s_lshr_b32 s61, s82, 24                                    // 000000003BFC: 8F3D9852
	s_and_b32 s82, s82, 0xffffff                               // 000000003C00: 8652FF52 00FFFFFF
	s_mul_i32 s82, s82, s71                                    // 000000003C08: 92524752
	s_mul_i32 s61, s60, s61                                    // 000000003C0C: 923D3D3C
	s_add_u32 s82, s82, s61                                    // 000000003C10: 80523D52
	v_mul_lo_u32 v6, v5, s82                                   // 000000003C14: D2850006 0000A505
	v_readlane_b32 s82, v3, 3                                  // 000000003C1C: D2890052 00010703
	s_lshr_b32 s61, s82, 24                                    // 000000003C24: 8F3D9852
	s_and_b32 s82, s82, 0xffffff                               // 000000003C28: 8652FF52 00FFFFFF
	s_mul_i32 s82, s82, s71                                    // 000000003C30: 92524752
	s_mul_i32 s61, s60, s61                                    // 000000003C34: 923D3D3C
	s_add_u32 s82, s82, s61                                    // 000000003C38: 80523D52
	v_mul_lo_u32 v7, v4, s82                                   // 000000003C3C: D2850007 0000A504
	v_add_u32_e32 v41, v6, v7                                  // 000000003C44: 68520F06
	v_readlane_b32 s82, v3, 4                                  // 000000003C48: D2890052 00010903
	s_lshr_b32 s61, s82, 24                                    // 000000003C50: 8F3D9852
	s_and_b32 s82, s82, 0xffffff                               // 000000003C54: 8652FF52 00FFFFFF
	s_mul_i32 s82, s82, s71                                    // 000000003C5C: 92524752
	s_mul_i32 s61, s60, s61                                    // 000000003C60: 923D3D3C
	s_add_u32 s82, s82, s61                                    // 000000003C64: 80523D52
	v_mul_lo_u32 v6, v5, s82                                   // 000000003C68: D2850006 0000A505
	v_readlane_b32 s82, v3, 5                                  // 000000003C70: D2890052 00010B03
	s_lshr_b32 s61, s82, 24                                    // 000000003C78: 8F3D9852
	s_and_b32 s82, s82, 0xffffff                               // 000000003C7C: 8652FF52 00FFFFFF
	s_mul_i32 s82, s82, s71                                    // 000000003C84: 92524752
	s_mul_i32 s61, s60, s61                                    // 000000003C88: 923D3D3C
	s_add_u32 s82, s82, s61                                    // 000000003C8C: 80523D52
	v_mul_lo_u32 v7, v4, s82                                   // 000000003C90: D2850007 0000A504
	v_add_u32_e32 v42, v6, v7                                  // 000000003C98: 68540F06
	v_readlane_b32 s82, v3, 6                                  // 000000003C9C: D2890052 00010D03
	s_lshr_b32 s61, s82, 24                                    // 000000003CA4: 8F3D9852
	s_and_b32 s82, s82, 0xffffff                               // 000000003CA8: 8652FF52 00FFFFFF
	s_mul_i32 s82, s82, s71                                    // 000000003CB0: 92524752
	s_mul_i32 s61, s60, s61                                    // 000000003CB4: 923D3D3C
	s_add_u32 s82, s82, s61                                    // 000000003CB8: 80523D52
	v_mul_lo_u32 v6, v5, s82                                   // 000000003CBC: D2850006 0000A505
	v_readlane_b32 s82, v3, 7                                  // 000000003CC4: D2890052 00010F03
	s_lshr_b32 s61, s82, 24                                    // 000000003CCC: 8F3D9852
	s_and_b32 s82, s82, 0xffffff                               // 000000003CD0: 8652FF52 00FFFFFF
	s_mul_i32 s82, s82, s71                                    // 000000003CD8: 92524752
	s_mul_i32 s61, s60, s61                                    // 000000003CDC: 923D3D3C
	s_add_u32 s82, s82, s61                                    // 000000003CE0: 80523D52
	v_mul_lo_u32 v7, v4, s82                                   // 000000003CE4: D2850007 0000A504
	v_add_u32_e32 v43, v6, v7                                  // 000000003CEC: 68560F06
	v_readlane_b32 s82, v3, 8                                  // 000000003CF0: D2890052 00011103
	s_lshr_b32 s61, s82, 24                                    // 000000003CF8: 8F3D9852
	s_and_b32 s82, s82, 0xffffff                               // 000000003CFC: 8652FF52 00FFFFFF
	s_mul_i32 s82, s82, s71                                    // 000000003D04: 92524752
	s_mul_i32 s61, s60, s61                                    // 000000003D08: 923D3D3C
	s_add_u32 s82, s82, s61                                    // 000000003D0C: 80523D52
	v_mul_lo_u32 v6, v5, s82                                   // 000000003D10: D2850006 0000A505
	v_readlane_b32 s82, v3, 9                                  // 000000003D18: D2890052 00011303
	s_lshr_b32 s61, s82, 24                                    // 000000003D20: 8F3D9852
	s_and_b32 s82, s82, 0xffffff                               // 000000003D24: 8652FF52 00FFFFFF
	s_mul_i32 s82, s82, s71                                    // 000000003D2C: 92524752
	s_mul_i32 s61, s60, s61                                    // 000000003D30: 923D3D3C
	s_add_u32 s82, s82, s61                                    // 000000003D34: 80523D52
	v_mul_lo_u32 v7, v4, s82                                   // 000000003D38: D2850007 0000A504
	v_add_u32_e32 v44, v6, v7                                  // 000000003D40: 68580F06
	v_readlane_b32 s82, v3, 10                                 // 000000003D44: D2890052 00011503
	s_lshr_b32 s61, s82, 24                                    // 000000003D4C: 8F3D9852
	s_and_b32 s82, s82, 0xffffff                               // 000000003D50: 8652FF52 00FFFFFF
	s_mul_i32 s82, s82, s71                                    // 000000003D58: 92524752
	s_mul_i32 s61, s60, s61                                    // 000000003D5C: 923D3D3C
	s_add_u32 s82, s82, s61                                    // 000000003D60: 80523D52
	v_mul_lo_u32 v6, v5, s82                                   // 000000003D64: D2850006 0000A505
	v_readlane_b32 s82, v3, 11                                 // 000000003D6C: D2890052 00011703
	s_lshr_b32 s61, s82, 24                                    // 000000003D74: 8F3D9852
	s_and_b32 s82, s82, 0xffffff                               // 000000003D78: 8652FF52 00FFFFFF
	s_mul_i32 s82, s82, s71                                    // 000000003D80: 92524752
	s_mul_i32 s61, s60, s61                                    // 000000003D84: 923D3D3C
	s_add_u32 s82, s82, s61                                    // 000000003D88: 80523D52
	v_mul_lo_u32 v7, v4, s82                                   // 000000003D8C: D2850007 0000A504
	v_add_u32_e32 v45, v6, v7                                  // 000000003D94: 685A0F06
	v_and_b32_e32 v4, 31, v0                                   // 000000003D98: 2608009F
	v_lshrrev_b32_e32 v4, 1, v4                                // 000000003D9C: 20080881
	s_cmp_eq_u32 s88, 0                                        // 000000003DA0: BF068058
	s_cselect_b32 s61, 2, 4                                    // 000000003DA4: 853D8482
	v_mul_lo_u32 v4, v4, s61                                   // 000000003DA8: D2850004 00007B04
	v_and_b32_e64 v5, v0, 1                                    // 000000003DB0: D1130005 00010300
	v_add_u32_e32 v4, v4, v5                                   // 000000003DB8: 68080B04
	v_lshlrev_b32_e32 v4, 2, v4                                // 000000003DBC: 24080882
	v_add_u32_e32 v40, v40, v4                                 // 000000003DC0: 68500928
	v_add_u32_e32 v41, v41, v4                                 // 000000003DC4: 68520929
	v_add_u32_e32 v42, v42, v4                                 // 000000003DC8: 6854092A
	v_add_u32_e32 v43, v43, v4                                 // 000000003DCC: 6856092B
	v_add_u32_e32 v44, v44, v4                                 // 000000003DD0: 6858092C
	v_add_u32_e32 v45, v45, v4                                 // 000000003DD4: 685A092D
	s_waitcnt lgkmcnt(0)                                       // 000000003DD8: BF8CC07F
	s_barrier                                                  // 000000003DDC: BF8A0000
	ds_read_b32 v48, v21                                       // 000000003DE0: D86C0000 30000015
	ds_read_b32 v49, v21 offset:64                             // 000000003DE8: D86C0040 31000015
	ds_read_b32 v50, v21 offset:2176                           // 000000003DF0: D86C0880 32000015
	ds_read_b32 v51, v21 offset:2240                           // 000000003DF8: D86C08C0 33000015
	ds_read_b32 v52, v21 offset:4352                           // 000000003E00: D86C1100 34000015
	ds_read_b32 v53, v21 offset:4416                           // 000000003E08: D86C1140 35000015
	s_waitcnt lgkmcnt(0)                                       // 000000003E10: BF8CC07F
	s_mov_b32 s36, -1                                          // 000000003E14: BEA400C1
	s_mov_b32 s37, -1                                          // 000000003E18: BEA500C1
	v_mov_b32_e32 v7, 0                                        // 000000003E1C: 7E0E0280
	s_or_b32 s9, s9, 0x40000                                   // 000000003E20: 8709FF09 00040000
	s_mov_b64 exec, s[36:37]                                   // 000000003E28: BEFE0124
	v_mov_b32_e32 v6, v40                                      // 000000003E2C: 7E0C0328
	s_mov_b64 s[60:61], 0                                      // 000000003E30: BEBC0180
	v_readlane_b32 s82, v3, 0                                  // 000000003E34: D2890052 00010103
	s_and_b32 s82, s82, 0xffffff                               // 000000003E3C: 8652FF52 00FFFFFF
	s_cmp_lt_u32 s82, s66                                      // 000000003E44: BF0A4252
	s_cselect_b32 s20, s36, s60                                // 000000003E48: 85143C24
	v_readlane_b32 s82, v3, 1                                  // 000000003E4C: D2890052 00010303
	s_and_b32 s82, s82, 0xffffff                               // 000000003E54: 8652FF52 00FFFFFF
	s_cmp_lt_u32 s82, s66                                      // 000000003E5C: BF0A4252
	s_cselect_b32 s21, s36, s60                                // 000000003E60: 85153C24
	s_mov_b64 exec, s[20:21]                                   // 000000003E64: BEFE0114
	buffer_store_dword v48, v6, s[8:11], 0 offen               // 000000003E68: E0701000 80023006
	s_mov_b64 exec, s[36:37]                                   // 000000003E70: BEFE0124
	v_mov_b32_e32 v6, v41                                      // 000000003E74: 7E0C0329
	s_mov_b64 s[60:61], 0                                      // 000000003E78: BEBC0180
	v_readlane_b32 s82, v3, 2                                  // 000000003E7C: D2890052 00010503
	s_and_b32 s82, s82, 0xffffff                               // 000000003E84: 8652FF52 00FFFFFF
	s_cmp_lt_u32 s82, s66                                      // 000000003E8C: BF0A4252
	s_cselect_b32 s20, s36, s60                                // 000000003E90: 85143C24
	v_readlane_b32 s82, v3, 3                                  // 000000003E94: D2890052 00010703
	s_and_b32 s82, s82, 0xffffff                               // 000000003E9C: 8652FF52 00FFFFFF
	s_cmp_lt_u32 s82, s66                                      // 000000003EA4: BF0A4252
	s_cselect_b32 s21, s36, s60                                // 000000003EA8: 85153C24
	s_mov_b64 exec, s[20:21]                                   // 000000003EAC: BEFE0114
	buffer_store_dword v49, v6, s[8:11], 0 offen               // 000000003EB0: E0701000 80023106
	s_mov_b64 exec, s[36:37]                                   // 000000003EB8: BEFE0124
	v_mov_b32_e32 v6, v42                                      // 000000003EBC: 7E0C032A
	s_mov_b64 s[60:61], 0                                      // 000000003EC0: BEBC0180
	v_readlane_b32 s82, v3, 4                                  // 000000003EC4: D2890052 00010903
	s_and_b32 s82, s82, 0xffffff                               // 000000003ECC: 8652FF52 00FFFFFF
	s_cmp_lt_u32 s82, s66                                      // 000000003ED4: BF0A4252
	s_cselect_b32 s20, s36, s60                                // 000000003ED8: 85143C24
	v_readlane_b32 s82, v3, 5                                  // 000000003EDC: D2890052 00010B03
	s_and_b32 s82, s82, 0xffffff                               // 000000003EE4: 8652FF52 00FFFFFF
	s_cmp_lt_u32 s82, s66                                      // 000000003EEC: BF0A4252
	s_cselect_b32 s21, s36, s60                                // 000000003EF0: 85153C24
	s_mov_b64 exec, s[20:21]                                   // 000000003EF4: BEFE0114
	buffer_store_dword v50, v6, s[8:11], 0 offen               // 000000003EF8: E0701000 80023206
	s_mov_b64 exec, s[36:37]                                   // 000000003F00: BEFE0124
	v_mov_b32_e32 v6, v43                                      // 000000003F04: 7E0C032B
	s_mov_b64 s[60:61], 0                                      // 000000003F08: BEBC0180
	v_readlane_b32 s82, v3, 6                                  // 000000003F0C: D2890052 00010D03
	s_and_b32 s82, s82, 0xffffff                               // 000000003F14: 8652FF52 00FFFFFF
	s_cmp_lt_u32 s82, s66                                      // 000000003F1C: BF0A4252
	s_cselect_b32 s20, s36, s60                                // 000000003F20: 85143C24
	v_readlane_b32 s82, v3, 7                                  // 000000003F24: D2890052 00010F03
	s_and_b32 s82, s82, 0xffffff                               // 000000003F2C: 8652FF52 00FFFFFF
	s_cmp_lt_u32 s82, s66                                      // 000000003F34: BF0A4252
	s_cselect_b32 s21, s36, s60                                // 000000003F38: 85153C24
	s_mov_b64 exec, s[20:21]                                   // 000000003F3C: BEFE0114
	buffer_store_dword v51, v6, s[8:11], 0 offen               // 000000003F40: E0701000 80023306
	s_mov_b64 exec, s[36:37]                                   // 000000003F48: BEFE0124
	v_mov_b32_e32 v6, v44                                      // 000000003F4C: 7E0C032C
	s_mov_b64 s[60:61], 0                                      // 000000003F50: BEBC0180
	v_readlane_b32 s82, v3, 8                                  // 000000003F54: D2890052 00011103
	s_and_b32 s82, s82, 0xffffff                               // 000000003F5C: 8652FF52 00FFFFFF
	s_cmp_lt_u32 s82, s66                                      // 000000003F64: BF0A4252
	s_cselect_b32 s20, s36, s60                                // 000000003F68: 85143C24
	v_readlane_b32 s82, v3, 9                                  // 000000003F6C: D2890052 00011303
	s_and_b32 s82, s82, 0xffffff                               // 000000003F74: 8652FF52 00FFFFFF
	s_cmp_lt_u32 s82, s66                                      // 000000003F7C: BF0A4252
	s_cselect_b32 s21, s36, s60                                // 000000003F80: 85153C24
	s_mov_b64 exec, s[20:21]                                   // 000000003F84: BEFE0114
	buffer_store_dword v52, v6, s[8:11], 0 offen               // 000000003F88: E0701000 80023406
	s_mov_b64 exec, s[36:37]                                   // 000000003F90: BEFE0124
	v_mov_b32_e32 v6, v45                                      // 000000003F94: 7E0C032D
	s_mov_b64 s[60:61], 0                                      // 000000003F98: BEBC0180
	v_readlane_b32 s82, v3, 10                                 // 000000003F9C: D2890052 00011503
	s_and_b32 s82, s82, 0xffffff                               // 000000003FA4: 8652FF52 00FFFFFF
	s_cmp_lt_u32 s82, s66                                      // 000000003FAC: BF0A4252
	s_cselect_b32 s20, s36, s60                                // 000000003FB0: 85143C24
	v_readlane_b32 s82, v3, 11                                 // 000000003FB4: D2890052 00011703
	s_and_b32 s82, s82, 0xffffff                               // 000000003FBC: 8652FF52 00FFFFFF
	s_cmp_lt_u32 s82, s66                                      // 000000003FC4: BF0A4252
	s_cselect_b32 s21, s36, s60                                // 000000003FC8: 85153C24
	s_mov_b64 exec, s[20:21]                                   // 000000003FCC: BEFE0114
	buffer_store_dword v53, v6, s[8:11], 0 offen               // 000000003FD0: E0701000 80023506
	s_mov_b64 exec, s[36:37]                                   // 000000003FD8: BEFE0124
	s_branch label_0E4D                                        // 000000003FDC: BF8208D2

0000000000003fe0 <label_0578>:
	ds_write_b64 v20, v[48:49]                                 // 000000003FE0: D89A0000 00003014
	ds_write_b64 v20, v[52:53] offset:2176                     // 000000003FE8: D89A0880 00003414
	ds_write_b64 v20, v[56:57] offset:4352                     // 000000003FF0: D89A1100 00003814
	v_lshrrev_b32_e32 v4, 5, v0                                // 000000003FF8: 20080085
	v_xor_b32_e32 v5, 1, v4                                    // 000000003FFC: 2A0A0881
	s_mul_i32 s60, s65, 2                                      // 000000004000: 923C8241
	s_cmp_eq_u32 s88, 0                                        // 000000004004: BF068058
	s_cselect_b32 s61, 1, 4                                    // 000000004008: 853D8481
	s_mul_i32 s60, s61, s60                                    // 00000000400C: 923C3C3D
	v_readlane_b32 s82, v3, 0                                  // 000000004010: D2890052 00010103
	s_lshr_b32 s61, s82, 24                                    // 000000004018: 8F3D9852
	s_and_b32 s82, s82, 0xffffff                               // 00000000401C: 8652FF52 00FFFFFF
	s_mul_i32 s82, s82, s71                                    // 000000004024: 92524752
	s_mul_i32 s61, s60, s61                                    // 000000004028: 923D3D3C
	s_add_u32 s82, s82, s61                                    // 00000000402C: 80523D52
	v_mul_lo_u32 v6, v5, s82                                   // 000000004030: D2850006 0000A505
	v_readlane_b32 s82, v3, 1                                  // 000000004038: D2890052 00010303
	s_lshr_b32 s61, s82, 24                                    // 000000004040: 8F3D9852
	s_and_b32 s82, s82, 0xffffff                               // 000000004044: 8652FF52 00FFFFFF
	s_mul_i32 s82, s82, s71                                    // 00000000404C: 92524752
	s_mul_i32 s61, s60, s61                                    // 000000004050: 923D3D3C
	s_add_u32 s82, s82, s61                                    // 000000004054: 80523D52
	v_mul_lo_u32 v7, v4, s82                                   // 000000004058: D2850007 0000A504
	v_add_u32_e32 v40, v6, v7                                  // 000000004060: 68500F06
	v_readlane_b32 s82, v3, 2                                  // 000000004064: D2890052 00010503
	s_lshr_b32 s61, s82, 24                                    // 00000000406C: 8F3D9852
	s_and_b32 s82, s82, 0xffffff                               // 000000004070: 8652FF52 00FFFFFF
	s_mul_i32 s82, s82, s71                                    // 000000004078: 92524752
	s_mul_i32 s61, s60, s61                                    // 00000000407C: 923D3D3C
	s_add_u32 s82, s82, s61                                    // 000000004080: 80523D52
	v_mul_lo_u32 v6, v5, s82                                   // 000000004084: D2850006 0000A505
	v_readlane_b32 s82, v3, 3                                  // 00000000408C: D2890052 00010703
	s_lshr_b32 s61, s82, 24                                    // 000000004094: 8F3D9852
	s_and_b32 s82, s82, 0xffffff                               // 000000004098: 8652FF52 00FFFFFF
	s_mul_i32 s82, s82, s71                                    // 0000000040A0: 92524752
	s_mul_i32 s61, s60, s61                                    // 0000000040A4: 923D3D3C
	s_add_u32 s82, s82, s61                                    // 0000000040A8: 80523D52
	v_mul_lo_u32 v7, v4, s82                                   // 0000000040AC: D2850007 0000A504
	v_add_u32_e32 v41, v6, v7                                  // 0000000040B4: 68520F06
	v_readlane_b32 s82, v3, 4                                  // 0000000040B8: D2890052 00010903
	s_lshr_b32 s61, s82, 24                                    // 0000000040C0: 8F3D9852
	s_and_b32 s82, s82, 0xffffff                               // 0000000040C4: 8652FF52 00FFFFFF
	s_mul_i32 s82, s82, s71                                    // 0000000040CC: 92524752
	s_mul_i32 s61, s60, s61                                    // 0000000040D0: 923D3D3C
	s_add_u32 s82, s82, s61                                    // 0000000040D4: 80523D52
	v_mul_lo_u32 v6, v5, s82                                   // 0000000040D8: D2850006 0000A505
	v_readlane_b32 s82, v3, 5                                  // 0000000040E0: D2890052 00010B03
	s_lshr_b32 s61, s82, 24                                    // 0000000040E8: 8F3D9852
	s_and_b32 s82, s82, 0xffffff                               // 0000000040EC: 8652FF52 00FFFFFF
	s_mul_i32 s82, s82, s71                                    // 0000000040F4: 92524752
	s_mul_i32 s61, s60, s61                                    // 0000000040F8: 923D3D3C
	s_add_u32 s82, s82, s61                                    // 0000000040FC: 80523D52
	v_mul_lo_u32 v7, v4, s82                                   // 000000004100: D2850007 0000A504
	v_add_u32_e32 v42, v6, v7                                  // 000000004108: 68540F06
	v_readlane_b32 s82, v3, 6                                  // 00000000410C: D2890052 00010D03
	s_lshr_b32 s61, s82, 24                                    // 000000004114: 8F3D9852
	s_and_b32 s82, s82, 0xffffff                               // 000000004118: 8652FF52 00FFFFFF
	s_mul_i32 s82, s82, s71                                    // 000000004120: 92524752
	s_mul_i32 s61, s60, s61                                    // 000000004124: 923D3D3C
	s_add_u32 s82, s82, s61                                    // 000000004128: 80523D52
	v_mul_lo_u32 v6, v5, s82                                   // 00000000412C: D2850006 0000A505
	v_readlane_b32 s82, v3, 7                                  // 000000004134: D2890052 00010F03
	s_lshr_b32 s61, s82, 24                                    // 00000000413C: 8F3D9852
	s_and_b32 s82, s82, 0xffffff                               // 000000004140: 8652FF52 00FFFFFF
	s_mul_i32 s82, s82, s71                                    // 000000004148: 92524752
	s_mul_i32 s61, s60, s61                                    // 00000000414C: 923D3D3C
	s_add_u32 s82, s82, s61                                    // 000000004150: 80523D52
	v_mul_lo_u32 v7, v4, s82                                   // 000000004154: D2850007 0000A504
	v_add_u32_e32 v43, v6, v7                                  // 00000000415C: 68560F06
	v_readlane_b32 s82, v3, 8                                  // 000000004160: D2890052 00011103
	s_lshr_b32 s61, s82, 24                                    // 000000004168: 8F3D9852
	s_and_b32 s82, s82, 0xffffff                               // 00000000416C: 8652FF52 00FFFFFF
	s_mul_i32 s82, s82, s71                                    // 000000004174: 92524752
	s_mul_i32 s61, s60, s61                                    // 000000004178: 923D3D3C
	s_add_u32 s82, s82, s61                                    // 00000000417C: 80523D52
	v_mul_lo_u32 v6, v5, s82                                   // 000000004180: D2850006 0000A505
	v_readlane_b32 s82, v3, 9                                  // 000000004188: D2890052 00011303
	s_lshr_b32 s61, s82, 24                                    // 000000004190: 8F3D9852
	s_and_b32 s82, s82, 0xffffff                               // 000000004194: 8652FF52 00FFFFFF
	s_mul_i32 s82, s82, s71                                    // 00000000419C: 92524752
	s_mul_i32 s61, s60, s61                                    // 0000000041A0: 923D3D3C
	s_add_u32 s82, s82, s61                                    // 0000000041A4: 80523D52
	v_mul_lo_u32 v7, v4, s82                                   // 0000000041A8: D2850007 0000A504
	v_add_u32_e32 v44, v6, v7                                  // 0000000041B0: 68580F06
	v_readlane_b32 s82, v3, 10                                 // 0000000041B4: D2890052 00011503
	s_lshr_b32 s61, s82, 24                                    // 0000000041BC: 8F3D9852
	s_and_b32 s82, s82, 0xffffff                               // 0000000041C0: 8652FF52 00FFFFFF
	s_mul_i32 s82, s82, s71                                    // 0000000041C8: 92524752
	s_mul_i32 s61, s60, s61                                    // 0000000041CC: 923D3D3C
	s_add_u32 s82, s82, s61                                    // 0000000041D0: 80523D52
	v_mul_lo_u32 v6, v5, s82                                   // 0000000041D4: D2850006 0000A505
	v_readlane_b32 s82, v3, 11                                 // 0000000041DC: D2890052 00011703
	s_lshr_b32 s61, s82, 24                                    // 0000000041E4: 8F3D9852
	s_and_b32 s82, s82, 0xffffff                               // 0000000041E8: 8652FF52 00FFFFFF
	s_mul_i32 s82, s82, s71                                    // 0000000041F0: 92524752
	s_mul_i32 s61, s60, s61                                    // 0000000041F4: 923D3D3C
	s_add_u32 s82, s82, s61                                    // 0000000041F8: 80523D52
	v_mul_lo_u32 v7, v4, s82                                   // 0000000041FC: D2850007 0000A504
	v_add_u32_e32 v45, v6, v7                                  // 000000004204: 685A0F06
	v_and_b32_e32 v4, 31, v0                                   // 000000004208: 2608009F
	v_lshrrev_b32_e32 v4, 1, v4                                // 00000000420C: 20080881
	s_cmp_eq_u32 s88, 0                                        // 000000004210: BF068058
	s_cselect_b32 s61, 2, 4                                    // 000000004214: 853D8482
	v_mul_lo_u32 v4, v4, s61                                   // 000000004218: D2850004 00007B04
	v_and_b32_e64 v5, v0, 1                                    // 000000004220: D1130005 00010300
	v_add_u32_e32 v4, v4, v5                                   // 000000004228: 68080B04
	v_lshlrev_b32_e32 v4, 2, v4                                // 00000000422C: 24080882
	v_add_u32_e32 v40, v40, v4                                 // 000000004230: 68500928
	v_add_u32_e32 v41, v41, v4                                 // 000000004234: 68520929
	v_add_u32_e32 v42, v42, v4                                 // 000000004238: 6854092A
	v_add_u32_e32 v43, v43, v4                                 // 00000000423C: 6856092B
	v_add_u32_e32 v44, v44, v4                                 // 000000004240: 6858092C
	v_add_u32_e32 v45, v45, v4                                 // 000000004244: 685A092D
	s_waitcnt lgkmcnt(0)                                       // 000000004248: BF8CC07F
	s_barrier                                                  // 00000000424C: BF8A0000
	ds_read_b32 v48, v21                                       // 000000004250: D86C0000 30000015
	ds_read_b32 v49, v21 offset:64                             // 000000004258: D86C0040 31000015
	ds_read_b32 v52, v21 offset:2176                           // 000000004260: D86C0880 34000015
	ds_read_b32 v53, v21 offset:2240                           // 000000004268: D86C08C0 35000015
	ds_read_b32 v56, v21 offset:4352                           // 000000004270: D86C1100 38000015
	ds_read_b32 v57, v21 offset:4416                           // 000000004278: D86C1140 39000015
	s_waitcnt lgkmcnt(0)                                       // 000000004280: BF8CC07F
	s_mov_b32 s36, -1                                          // 000000004284: BEA400C1
	s_mov_b32 s37, -1                                          // 000000004288: BEA500C1
	v_mov_b32_e32 v7, 0                                        // 00000000428C: 7E0E0280
	s_mov_b64 exec, s[36:37]                                   // 000000004290: BEFE0124
	v_mov_b32_e32 v6, v40                                      // 000000004294: 7E0C0328
	s_mov_b64 s[60:61], 0                                      // 000000004298: BEBC0180
	v_readlane_b32 s82, v3, 0                                  // 00000000429C: D2890052 00010103
	s_and_b32 s82, s82, 0xffffff                               // 0000000042A4: 8652FF52 00FFFFFF
	s_cmp_lt_u32 s82, s66                                      // 0000000042AC: BF0A4252
	s_cselect_b32 s20, s36, s60                                // 0000000042B0: 85143C24
	v_readlane_b32 s82, v3, 1                                  // 0000000042B4: D2890052 00010303
	s_and_b32 s82, s82, 0xffffff                               // 0000000042BC: 8652FF52 00FFFFFF
	s_cmp_lt_u32 s82, s66                                      // 0000000042C4: BF0A4252
	s_cselect_b32 s21, s36, s60                                // 0000000042C8: 85153C24
	s_mov_b64 exec, s[20:21]                                   // 0000000042CC: BEFE0114
	global_atomic_add_f32 v6, v48, s[8:9]                      // 0000000042D0: DD348000 00083006
	s_mov_b64 exec, s[36:37]                                   // 0000000042D8: BEFE0124
	v_mov_b32_e32 v6, v41                                      // 0000000042DC: 7E0C0329
	s_mov_b64 s[60:61], 0                                      // 0000000042E0: BEBC0180
	v_readlane_b32 s82, v3, 2                                  // 0000000042E4: D2890052 00010503
	s_and_b32 s82, s82, 0xffffff                               // 0000000042EC: 8652FF52 00FFFFFF
	s_cmp_lt_u32 s82, s66                                      // 0000000042F4: BF0A4252
	s_cselect_b32 s20, s36, s60                                // 0000000042F8: 85143C24
	v_readlane_b32 s82, v3, 3                                  // 0000000042FC: D2890052 00010703
	s_and_b32 s82, s82, 0xffffff                               // 000000004304: 8652FF52 00FFFFFF
	s_cmp_lt_u32 s82, s66                                      // 00000000430C: BF0A4252
	s_cselect_b32 s21, s36, s60                                // 000000004310: 85153C24
	s_mov_b64 exec, s[20:21]                                   // 000000004314: BEFE0114
	global_atomic_add_f32 v6, v49, s[8:9]                      // 000000004318: DD348000 00083106
	s_mov_b64 exec, s[36:37]                                   // 000000004320: BEFE0124
	v_mov_b32_e32 v6, v42                                      // 000000004324: 7E0C032A
	s_mov_b64 s[60:61], 0                                      // 000000004328: BEBC0180
	v_readlane_b32 s82, v3, 4                                  // 00000000432C: D2890052 00010903
	s_and_b32 s82, s82, 0xffffff                               // 000000004334: 8652FF52 00FFFFFF
	s_cmp_lt_u32 s82, s66                                      // 00000000433C: BF0A4252
	s_cselect_b32 s20, s36, s60                                // 000000004340: 85143C24
	v_readlane_b32 s82, v3, 5                                  // 000000004344: D2890052 00010B03
	s_and_b32 s82, s82, 0xffffff                               // 00000000434C: 8652FF52 00FFFFFF
	s_cmp_lt_u32 s82, s66                                      // 000000004354: BF0A4252
	s_cselect_b32 s21, s36, s60                                // 000000004358: 85153C24
	s_mov_b64 exec, s[20:21]                                   // 00000000435C: BEFE0114
	global_atomic_add_f32 v6, v52, s[8:9]                      // 000000004360: DD348000 00083406
	s_mov_b64 exec, s[36:37]                                   // 000000004368: BEFE0124
	v_mov_b32_e32 v6, v43                                      // 00000000436C: 7E0C032B
	s_mov_b64 s[60:61], 0                                      // 000000004370: BEBC0180
	v_readlane_b32 s82, v3, 6                                  // 000000004374: D2890052 00010D03
	s_and_b32 s82, s82, 0xffffff                               // 00000000437C: 8652FF52 00FFFFFF
	s_cmp_lt_u32 s82, s66                                      // 000000004384: BF0A4252
	s_cselect_b32 s20, s36, s60                                // 000000004388: 85143C24
	v_readlane_b32 s82, v3, 7                                  // 00000000438C: D2890052 00010F03
	s_and_b32 s82, s82, 0xffffff                               // 000000004394: 8652FF52 00FFFFFF
	s_cmp_lt_u32 s82, s66                                      // 00000000439C: BF0A4252
	s_cselect_b32 s21, s36, s60                                // 0000000043A0: 85153C24
	s_mov_b64 exec, s[20:21]                                   // 0000000043A4: BEFE0114
	global_atomic_add_f32 v6, v53, s[8:9]                      // 0000000043A8: DD348000 00083506
	s_mov_b64 exec, s[36:37]                                   // 0000000043B0: BEFE0124
	v_mov_b32_e32 v6, v44                                      // 0000000043B4: 7E0C032C
	s_mov_b64 s[60:61], 0                                      // 0000000043B8: BEBC0180
	v_readlane_b32 s82, v3, 8                                  // 0000000043BC: D2890052 00011103
	s_and_b32 s82, s82, 0xffffff                               // 0000000043C4: 8652FF52 00FFFFFF
	s_cmp_lt_u32 s82, s66                                      // 0000000043CC: BF0A4252
	s_cselect_b32 s20, s36, s60                                // 0000000043D0: 85143C24
	v_readlane_b32 s82, v3, 9                                  // 0000000043D4: D2890052 00011303
	s_and_b32 s82, s82, 0xffffff                               // 0000000043DC: 8652FF52 00FFFFFF
	s_cmp_lt_u32 s82, s66                                      // 0000000043E4: BF0A4252
	s_cselect_b32 s21, s36, s60                                // 0000000043E8: 85153C24
	s_mov_b64 exec, s[20:21]                                   // 0000000043EC: BEFE0114
	global_atomic_add_f32 v6, v56, s[8:9]                      // 0000000043F0: DD348000 00083806
	s_mov_b64 exec, s[36:37]                                   // 0000000043F8: BEFE0124
	v_mov_b32_e32 v6, v45                                      // 0000000043FC: 7E0C032D
	s_mov_b64 s[60:61], 0                                      // 000000004400: BEBC0180
	v_readlane_b32 s82, v3, 10                                 // 000000004404: D2890052 00011503
	s_and_b32 s82, s82, 0xffffff                               // 00000000440C: 8652FF52 00FFFFFF
	s_cmp_lt_u32 s82, s66                                      // 000000004414: BF0A4252
	s_cselect_b32 s20, s36, s60                                // 000000004418: 85143C24
	v_readlane_b32 s82, v3, 11                                 // 00000000441C: D2890052 00011703
	s_and_b32 s82, s82, 0xffffff                               // 000000004424: 8652FF52 00FFFFFF
	s_cmp_lt_u32 s82, s66                                      // 00000000442C: BF0A4252
	s_cselect_b32 s21, s36, s60                                // 000000004430: 85153C24
	s_mov_b64 exec, s[20:21]                                   // 000000004434: BEFE0114
	global_atomic_add_f32 v6, v57, s[8:9]                      // 000000004438: DD348000 00083906
	s_mov_b64 exec, s[36:37]                                   // 000000004440: BEFE0124
	ds_write_b64 v20, v[50:51]                                 // 000000004444: D89A0000 00003214
	ds_write_b64 v20, v[54:55] offset:2176                     // 00000000444C: D89A0880 00003614
	ds_write_b64 v20, v[58:59] offset:4352                     // 000000004454: D89A1100 00003A14
	s_waitcnt lgkmcnt(0)                                       // 00000000445C: BF8CC07F
	s_barrier                                                  // 000000004460: BF8A0000
	ds_read_b32 v50, v21                                       // 000000004464: D86C0000 32000015
	ds_read_b32 v51, v21 offset:64                             // 00000000446C: D86C0040 33000015
	ds_read_b32 v54, v21 offset:2176                           // 000000004474: D86C0880 36000015
	ds_read_b32 v55, v21 offset:2240                           // 00000000447C: D86C08C0 37000015
	ds_read_b32 v58, v21 offset:4352                           // 000000004484: D86C1100 3A000015
	ds_read_b32 v59, v21 offset:4416                           // 00000000448C: D86C1140 3B000015
	s_waitcnt lgkmcnt(0)                                       // 000000004494: BF8CC07F
	v_mov_b32_e32 v7, 0                                        // 000000004498: 7E0E0280
	s_mov_b64 exec, s[36:37]                                   // 00000000449C: BEFE0124
	v_mov_b32_e32 v6, v40                                      // 0000000044A0: 7E0C0328
	s_mov_b64 s[60:61], 0                                      // 0000000044A4: BEBC0180
	v_readlane_b32 s82, v3, 0                                  // 0000000044A8: D2890052 00010103
	s_and_b32 s82, s82, 0xffffff                               // 0000000044B0: 8652FF52 00FFFFFF
	s_cmp_lt_u32 s82, s66                                      // 0000000044B8: BF0A4252
	s_cselect_b32 s20, s36, s60                                // 0000000044BC: 85143C24
	v_readlane_b32 s82, v3, 1                                  // 0000000044C0: D2890052 00010303
	s_and_b32 s82, s82, 0xffffff                               // 0000000044C8: 8652FF52 00FFFFFF
	s_cmp_lt_u32 s82, s66                                      // 0000000044D0: BF0A4252
	s_cselect_b32 s21, s36, s60                                // 0000000044D4: 85153C24
	s_mov_b64 exec, s[20:21]                                   // 0000000044D8: BEFE0114
	global_atomic_add_f32 v6, v50, s[8:9] offset:8             // 0000000044DC: DD348008 00083206
	s_mov_b64 exec, s[36:37]                                   // 0000000044E4: BEFE0124
	v_mov_b32_e32 v6, v41                                      // 0000000044E8: 7E0C0329
	s_mov_b64 s[60:61], 0                                      // 0000000044EC: BEBC0180
	v_readlane_b32 s82, v3, 2                                  // 0000000044F0: D2890052 00010503
	s_and_b32 s82, s82, 0xffffff                               // 0000000044F8: 8652FF52 00FFFFFF
	s_cmp_lt_u32 s82, s66                                      // 000000004500: BF0A4252
	s_cselect_b32 s20, s36, s60                                // 000000004504: 85143C24
	v_readlane_b32 s82, v3, 3                                  // 000000004508: D2890052 00010703
	s_and_b32 s82, s82, 0xffffff                               // 000000004510: 8652FF52 00FFFFFF
	s_cmp_lt_u32 s82, s66                                      // 000000004518: BF0A4252
	s_cselect_b32 s21, s36, s60                                // 00000000451C: 85153C24
	s_mov_b64 exec, s[20:21]                                   // 000000004520: BEFE0114
	global_atomic_add_f32 v6, v51, s[8:9] offset:8             // 000000004524: DD348008 00083306
	s_mov_b64 exec, s[36:37]                                   // 00000000452C: BEFE0124
	v_mov_b32_e32 v6, v42                                      // 000000004530: 7E0C032A
	s_mov_b64 s[60:61], 0                                      // 000000004534: BEBC0180
	v_readlane_b32 s82, v3, 4                                  // 000000004538: D2890052 00010903
	s_and_b32 s82, s82, 0xffffff                               // 000000004540: 8652FF52 00FFFFFF
	s_cmp_lt_u32 s82, s66                                      // 000000004548: BF0A4252
	s_cselect_b32 s20, s36, s60                                // 00000000454C: 85143C24
	v_readlane_b32 s82, v3, 5                                  // 000000004550: D2890052 00010B03
	s_and_b32 s82, s82, 0xffffff                               // 000000004558: 8652FF52 00FFFFFF
	s_cmp_lt_u32 s82, s66                                      // 000000004560: BF0A4252
	s_cselect_b32 s21, s36, s60                                // 000000004564: 85153C24
	s_mov_b64 exec, s[20:21]                                   // 000000004568: BEFE0114
	global_atomic_add_f32 v6, v54, s[8:9] offset:8             // 00000000456C: DD348008 00083606
	s_mov_b64 exec, s[36:37]                                   // 000000004574: BEFE0124
	v_mov_b32_e32 v6, v43                                      // 000000004578: 7E0C032B
	s_mov_b64 s[60:61], 0                                      // 00000000457C: BEBC0180
	v_readlane_b32 s82, v3, 6                                  // 000000004580: D2890052 00010D03
	s_and_b32 s82, s82, 0xffffff                               // 000000004588: 8652FF52 00FFFFFF
	s_cmp_lt_u32 s82, s66                                      // 000000004590: BF0A4252
	s_cselect_b32 s20, s36, s60                                // 000000004594: 85143C24
	v_readlane_b32 s82, v3, 7                                  // 000000004598: D2890052 00010F03
	s_and_b32 s82, s82, 0xffffff                               // 0000000045A0: 8652FF52 00FFFFFF
	s_cmp_lt_u32 s82, s66                                      // 0000000045A8: BF0A4252
	s_cselect_b32 s21, s36, s60                                // 0000000045AC: 85153C24
	s_mov_b64 exec, s[20:21]                                   // 0000000045B0: BEFE0114
	global_atomic_add_f32 v6, v55, s[8:9] offset:8             // 0000000045B4: DD348008 00083706
	s_mov_b64 exec, s[36:37]                                   // 0000000045BC: BEFE0124
	v_mov_b32_e32 v6, v44                                      // 0000000045C0: 7E0C032C
	s_mov_b64 s[60:61], 0                                      // 0000000045C4: BEBC0180
	v_readlane_b32 s82, v3, 8                                  // 0000000045C8: D2890052 00011103
	s_and_b32 s82, s82, 0xffffff                               // 0000000045D0: 8652FF52 00FFFFFF
	s_cmp_lt_u32 s82, s66                                      // 0000000045D8: BF0A4252
	s_cselect_b32 s20, s36, s60                                // 0000000045DC: 85143C24
	v_readlane_b32 s82, v3, 9                                  // 0000000045E0: D2890052 00011303
	s_and_b32 s82, s82, 0xffffff                               // 0000000045E8: 8652FF52 00FFFFFF
	s_cmp_lt_u32 s82, s66                                      // 0000000045F0: BF0A4252
	s_cselect_b32 s21, s36, s60                                // 0000000045F4: 85153C24
	s_mov_b64 exec, s[20:21]                                   // 0000000045F8: BEFE0114
	global_atomic_add_f32 v6, v58, s[8:9] offset:8             // 0000000045FC: DD348008 00083A06
	s_mov_b64 exec, s[36:37]                                   // 000000004604: BEFE0124
	v_mov_b32_e32 v6, v45                                      // 000000004608: 7E0C032D
	s_mov_b64 s[60:61], 0                                      // 00000000460C: BEBC0180
	v_readlane_b32 s82, v3, 10                                 // 000000004610: D2890052 00011503
	s_and_b32 s82, s82, 0xffffff                               // 000000004618: 8652FF52 00FFFFFF
	s_cmp_lt_u32 s82, s66                                      // 000000004620: BF0A4252
	s_cselect_b32 s20, s36, s60                                // 000000004624: 85143C24
	v_readlane_b32 s82, v3, 11                                 // 000000004628: D2890052 00011703
	s_and_b32 s82, s82, 0xffffff                               // 000000004630: 8652FF52 00FFFFFF
	s_cmp_lt_u32 s82, s66                                      // 000000004638: BF0A4252
	s_cselect_b32 s21, s36, s60                                // 00000000463C: 85153C24
	s_mov_b64 exec, s[20:21]                                   // 000000004640: BEFE0114
	global_atomic_add_f32 v6, v59, s[8:9] offset:8             // 000000004644: DD348008 00083B06
	s_mov_b64 exec, s[36:37]                                   // 00000000464C: BEFE0124
	ds_write_b64 v20, v[60:61]                                 // 000000004650: D89A0000 00003C14
	ds_write_b64 v20, v[64:65] offset:2176                     // 000000004658: D89A0880 00004014
	ds_write_b64 v20, v[68:69] offset:4352                     // 000000004660: D89A1100 00004414
	s_waitcnt lgkmcnt(0)                                       // 000000004668: BF8CC07F
	s_barrier                                                  // 00000000466C: BF8A0000
	ds_read_b32 v60, v21                                       // 000000004670: D86C0000 3C000015
	ds_read_b32 v61, v21 offset:64                             // 000000004678: D86C0040 3D000015
	ds_read_b32 v64, v21 offset:2176                           // 000000004680: D86C0880 40000015
	ds_read_b32 v65, v21 offset:2240                           // 000000004688: D86C08C0 41000015
	ds_read_b32 v68, v21 offset:4352                           // 000000004690: D86C1100 44000015
	ds_read_b32 v69, v21 offset:4416                           // 000000004698: D86C1140 45000015
	s_mul_i32 s60, s65, 4                                      // 0000000046A0: 923C8441
	s_add_u32 s8, s60, s8                                      // 0000000046A4: 8008083C
	s_addc_u32 s9, 0, s9                                       // 0000000046A8: 82090980
	s_waitcnt lgkmcnt(0)                                       // 0000000046AC: BF8CC07F
	v_mov_b32_e32 v7, 0                                        // 0000000046B0: 7E0E0280
	s_mov_b64 exec, s[36:37]                                   // 0000000046B4: BEFE0124
	v_mov_b32_e32 v6, v40                                      // 0000000046B8: 7E0C0328
	s_mov_b64 s[60:61], 0                                      // 0000000046BC: BEBC0180
	v_readlane_b32 s82, v3, 0                                  // 0000000046C0: D2890052 00010103
	s_and_b32 s82, s82, 0xffffff                               // 0000000046C8: 8652FF52 00FFFFFF
	s_cmp_lt_u32 s82, s66                                      // 0000000046D0: BF0A4252
	s_cselect_b32 s20, s36, s60                                // 0000000046D4: 85143C24
	v_readlane_b32 s82, v3, 1                                  // 0000000046D8: D2890052 00010303
	s_and_b32 s82, s82, 0xffffff                               // 0000000046E0: 8652FF52 00FFFFFF
	s_cmp_lt_u32 s82, s66                                      // 0000000046E8: BF0A4252
	s_cselect_b32 s21, s36, s60                                // 0000000046EC: 85153C24
	s_mov_b64 exec, s[20:21]                                   // 0000000046F0: BEFE0114
	global_atomic_add_f32 v6, v60, s[8:9]                      // 0000000046F4: DD348000 00083C06
	s_mov_b64 exec, s[36:37]                                   // 0000000046FC: BEFE0124
	v_mov_b32_e32 v6, v41                                      // 000000004700: 7E0C0329
	s_mov_b64 s[60:61], 0                                      // 000000004704: BEBC0180
	v_readlane_b32 s82, v3, 2                                  // 000000004708: D2890052 00010503
	s_and_b32 s82, s82, 0xffffff                               // 000000004710: 8652FF52 00FFFFFF
	s_cmp_lt_u32 s82, s66                                      // 000000004718: BF0A4252
	s_cselect_b32 s20, s36, s60                                // 00000000471C: 85143C24
	v_readlane_b32 s82, v3, 3                                  // 000000004720: D2890052 00010703
	s_and_b32 s82, s82, 0xffffff                               // 000000004728: 8652FF52 00FFFFFF
	s_cmp_lt_u32 s82, s66                                      // 000000004730: BF0A4252
	s_cselect_b32 s21, s36, s60                                // 000000004734: 85153C24
	s_mov_b64 exec, s[20:21]                                   // 000000004738: BEFE0114
	global_atomic_add_f32 v6, v61, s[8:9]                      // 00000000473C: DD348000 00083D06
	s_mov_b64 exec, s[36:37]                                   // 000000004744: BEFE0124
	v_mov_b32_e32 v6, v42                                      // 000000004748: 7E0C032A
	s_mov_b64 s[60:61], 0                                      // 00000000474C: BEBC0180
	v_readlane_b32 s82, v3, 4                                  // 000000004750: D2890052 00010903
	s_and_b32 s82, s82, 0xffffff                               // 000000004758: 8652FF52 00FFFFFF
	s_cmp_lt_u32 s82, s66                                      // 000000004760: BF0A4252
	s_cselect_b32 s20, s36, s60                                // 000000004764: 85143C24
	v_readlane_b32 s82, v3, 5                                  // 000000004768: D2890052 00010B03
	s_and_b32 s82, s82, 0xffffff                               // 000000004770: 8652FF52 00FFFFFF
	s_cmp_lt_u32 s82, s66                                      // 000000004778: BF0A4252
	s_cselect_b32 s21, s36, s60                                // 00000000477C: 85153C24
	s_mov_b64 exec, s[20:21]                                   // 000000004780: BEFE0114
	global_atomic_add_f32 v6, v64, s[8:9]                      // 000000004784: DD348000 00084006
	s_mov_b64 exec, s[36:37]                                   // 00000000478C: BEFE0124
	v_mov_b32_e32 v6, v43                                      // 000000004790: 7E0C032B
	s_mov_b64 s[60:61], 0                                      // 000000004794: BEBC0180
	v_readlane_b32 s82, v3, 6                                  // 000000004798: D2890052 00010D03
	s_and_b32 s82, s82, 0xffffff                               // 0000000047A0: 8652FF52 00FFFFFF
	s_cmp_lt_u32 s82, s66                                      // 0000000047A8: BF0A4252
	s_cselect_b32 s20, s36, s60                                // 0000000047AC: 85143C24
	v_readlane_b32 s82, v3, 7                                  // 0000000047B0: D2890052 00010F03
	s_and_b32 s82, s82, 0xffffff                               // 0000000047B8: 8652FF52 00FFFFFF
	s_cmp_lt_u32 s82, s66                                      // 0000000047C0: BF0A4252
	s_cselect_b32 s21, s36, s60                                // 0000000047C4: 85153C24
	s_mov_b64 exec, s[20:21]                                   // 0000000047C8: BEFE0114
	global_atomic_add_f32 v6, v65, s[8:9]                      // 0000000047CC: DD348000 00084106
	s_mov_b64 exec, s[36:37]                                   // 0000000047D4: BEFE0124
	v_mov_b32_e32 v6, v44                                      // 0000000047D8: 7E0C032C
	s_mov_b64 s[60:61], 0                                      // 0000000047DC: BEBC0180
	v_readlane_b32 s82, v3, 8                                  // 0000000047E0: D2890052 00011103
	s_and_b32 s82, s82, 0xffffff                               // 0000000047E8: 8652FF52 00FFFFFF
	s_cmp_lt_u32 s82, s66                                      // 0000000047F0: BF0A4252
	s_cselect_b32 s20, s36, s60                                // 0000000047F4: 85143C24
	v_readlane_b32 s82, v3, 9                                  // 0000000047F8: D2890052 00011303
	s_and_b32 s82, s82, 0xffffff                               // 000000004800: 8652FF52 00FFFFFF
	s_cmp_lt_u32 s82, s66                                      // 000000004808: BF0A4252
	s_cselect_b32 s21, s36, s60                                // 00000000480C: 85153C24
	s_mov_b64 exec, s[20:21]                                   // 000000004810: BEFE0114
	global_atomic_add_f32 v6, v68, s[8:9]                      // 000000004814: DD348000 00084406
	s_mov_b64 exec, s[36:37]                                   // 00000000481C: BEFE0124
	v_mov_b32_e32 v6, v45                                      // 000000004820: 7E0C032D
	s_mov_b64 s[60:61], 0                                      // 000000004824: BEBC0180
	v_readlane_b32 s82, v3, 10                                 // 000000004828: D2890052 00011503
	s_and_b32 s82, s82, 0xffffff                               // 000000004830: 8652FF52 00FFFFFF
	s_cmp_lt_u32 s82, s66                                      // 000000004838: BF0A4252
	s_cselect_b32 s20, s36, s60                                // 00000000483C: 85143C24
	v_readlane_b32 s82, v3, 11                                 // 000000004840: D2890052 00011703
	s_and_b32 s82, s82, 0xffffff                               // 000000004848: 8652FF52 00FFFFFF
	s_cmp_lt_u32 s82, s66                                      // 000000004850: BF0A4252
	s_cselect_b32 s21, s36, s60                                // 000000004854: 85153C24
	s_mov_b64 exec, s[20:21]                                   // 000000004858: BEFE0114
	global_atomic_add_f32 v6, v69, s[8:9]                      // 00000000485C: DD348000 00084506
	s_mov_b64 exec, s[36:37]                                   // 000000004864: BEFE0124
	ds_write_b64 v20, v[62:63]                                 // 000000004868: D89A0000 00003E14
	ds_write_b64 v20, v[66:67] offset:2176                     // 000000004870: D89A0880 00004214
	ds_write_b64 v20, v[70:71] offset:4352                     // 000000004878: D89A1100 00004614
	s_waitcnt lgkmcnt(0)                                       // 000000004880: BF8CC07F
	s_barrier                                                  // 000000004884: BF8A0000
	ds_read_b32 v62, v21                                       // 000000004888: D86C0000 3E000015
	ds_read_b32 v63, v21 offset:64                             // 000000004890: D86C0040 3F000015
	ds_read_b32 v66, v21 offset:2176                           // 000000004898: D86C0880 42000015
	ds_read_b32 v67, v21 offset:2240                           // 0000000048A0: D86C08C0 43000015
	ds_read_b32 v70, v21 offset:4352                           // 0000000048A8: D86C1100 46000015
	ds_read_b32 v71, v21 offset:4416                           // 0000000048B0: D86C1140 47000015
	s_waitcnt lgkmcnt(0)                                       // 0000000048B8: BF8CC07F
	v_mov_b32_e32 v7, 0                                        // 0000000048BC: 7E0E0280
	s_mov_b64 exec, s[36:37]                                   // 0000000048C0: BEFE0124
	v_mov_b32_e32 v6, v40                                      // 0000000048C4: 7E0C0328
	s_mov_b64 s[60:61], 0                                      // 0000000048C8: BEBC0180
	v_readlane_b32 s82, v3, 0                                  // 0000000048CC: D2890052 00010103
	s_and_b32 s82, s82, 0xffffff                               // 0000000048D4: 8652FF52 00FFFFFF
	s_cmp_lt_u32 s82, s66                                      // 0000000048DC: BF0A4252
	s_cselect_b32 s20, s36, s60                                // 0000000048E0: 85143C24
	v_readlane_b32 s82, v3, 1                                  // 0000000048E4: D2890052 00010303
	s_and_b32 s82, s82, 0xffffff                               // 0000000048EC: 8652FF52 00FFFFFF
	s_cmp_lt_u32 s82, s66                                      // 0000000048F4: BF0A4252
	s_cselect_b32 s21, s36, s60                                // 0000000048F8: 85153C24
	s_mov_b64 exec, s[20:21]                                   // 0000000048FC: BEFE0114
	global_atomic_add_f32 v6, v62, s[8:9] offset:8             // 000000004900: DD348008 00083E06
	s_mov_b64 exec, s[36:37]                                   // 000000004908: BEFE0124
	v_mov_b32_e32 v6, v41                                      // 00000000490C: 7E0C0329
	s_mov_b64 s[60:61], 0                                      // 000000004910: BEBC0180
	v_readlane_b32 s82, v3, 2                                  // 000000004914: D2890052 00010503
	s_and_b32 s82, s82, 0xffffff                               // 00000000491C: 8652FF52 00FFFFFF
	s_cmp_lt_u32 s82, s66                                      // 000000004924: BF0A4252
	s_cselect_b32 s20, s36, s60                                // 000000004928: 85143C24
	v_readlane_b32 s82, v3, 3                                  // 00000000492C: D2890052 00010703
	s_and_b32 s82, s82, 0xffffff                               // 000000004934: 8652FF52 00FFFFFF
	s_cmp_lt_u32 s82, s66                                      // 00000000493C: BF0A4252
	s_cselect_b32 s21, s36, s60                                // 000000004940: 85153C24
	s_mov_b64 exec, s[20:21]                                   // 000000004944: BEFE0114
	global_atomic_add_f32 v6, v63, s[8:9] offset:8             // 000000004948: DD348008 00083F06
	s_mov_b64 exec, s[36:37]                                   // 000000004950: BEFE0124
	v_mov_b32_e32 v6, v42                                      // 000000004954: 7E0C032A
	s_mov_b64 s[60:61], 0                                      // 000000004958: BEBC0180
	v_readlane_b32 s82, v3, 4                                  // 00000000495C: D2890052 00010903
	s_and_b32 s82, s82, 0xffffff                               // 000000004964: 8652FF52 00FFFFFF
	s_cmp_lt_u32 s82, s66                                      // 00000000496C: BF0A4252
	s_cselect_b32 s20, s36, s60                                // 000000004970: 85143C24
	v_readlane_b32 s82, v3, 5                                  // 000000004974: D2890052 00010B03
	s_and_b32 s82, s82, 0xffffff                               // 00000000497C: 8652FF52 00FFFFFF
	s_cmp_lt_u32 s82, s66                                      // 000000004984: BF0A4252
	s_cselect_b32 s21, s36, s60                                // 000000004988: 85153C24
	s_mov_b64 exec, s[20:21]                                   // 00000000498C: BEFE0114
	global_atomic_add_f32 v6, v66, s[8:9] offset:8             // 000000004990: DD348008 00084206
	s_mov_b64 exec, s[36:37]                                   // 000000004998: BEFE0124
	v_mov_b32_e32 v6, v43                                      // 00000000499C: 7E0C032B
	s_mov_b64 s[60:61], 0                                      // 0000000049A0: BEBC0180
	v_readlane_b32 s82, v3, 6                                  // 0000000049A4: D2890052 00010D03
	s_and_b32 s82, s82, 0xffffff                               // 0000000049AC: 8652FF52 00FFFFFF
	s_cmp_lt_u32 s82, s66                                      // 0000000049B4: BF0A4252
	s_cselect_b32 s20, s36, s60                                // 0000000049B8: 85143C24
	v_readlane_b32 s82, v3, 7                                  // 0000000049BC: D2890052 00010F03
	s_and_b32 s82, s82, 0xffffff                               // 0000000049C4: 8652FF52 00FFFFFF
	s_cmp_lt_u32 s82, s66                                      // 0000000049CC: BF0A4252
	s_cselect_b32 s21, s36, s60                                // 0000000049D0: 85153C24
	s_mov_b64 exec, s[20:21]                                   // 0000000049D4: BEFE0114
	global_atomic_add_f32 v6, v67, s[8:9] offset:8             // 0000000049D8: DD348008 00084306
	s_mov_b64 exec, s[36:37]                                   // 0000000049E0: BEFE0124
	v_mov_b32_e32 v6, v44                                      // 0000000049E4: 7E0C032C
	s_mov_b64 s[60:61], 0                                      // 0000000049E8: BEBC0180
	v_readlane_b32 s82, v3, 8                                  // 0000000049EC: D2890052 00011103
	s_and_b32 s82, s82, 0xffffff                               // 0000000049F4: 8652FF52 00FFFFFF
	s_cmp_lt_u32 s82, s66                                      // 0000000049FC: BF0A4252
	s_cselect_b32 s20, s36, s60                                // 000000004A00: 85143C24
	v_readlane_b32 s82, v3, 9                                  // 000000004A04: D2890052 00011303
	s_and_b32 s82, s82, 0xffffff                               // 000000004A0C: 8652FF52 00FFFFFF
	s_cmp_lt_u32 s82, s66                                      // 000000004A14: BF0A4252
	s_cselect_b32 s21, s36, s60                                // 000000004A18: 85153C24
	s_mov_b64 exec, s[20:21]                                   // 000000004A1C: BEFE0114
	global_atomic_add_f32 v6, v70, s[8:9] offset:8             // 000000004A20: DD348008 00084606
	s_mov_b64 exec, s[36:37]                                   // 000000004A28: BEFE0124
	v_mov_b32_e32 v6, v45                                      // 000000004A2C: 7E0C032D
	s_mov_b64 s[60:61], 0                                      // 000000004A30: BEBC0180
	v_readlane_b32 s82, v3, 10                                 // 000000004A34: D2890052 00011503
	s_and_b32 s82, s82, 0xffffff                               // 000000004A3C: 8652FF52 00FFFFFF
	s_cmp_lt_u32 s82, s66                                      // 000000004A44: BF0A4252
	s_cselect_b32 s20, s36, s60                                // 000000004A48: 85143C24
	v_readlane_b32 s82, v3, 11                                 // 000000004A4C: D2890052 00011703
	s_and_b32 s82, s82, 0xffffff                               // 000000004A54: 8652FF52 00FFFFFF
	s_cmp_lt_u32 s82, s66                                      // 000000004A5C: BF0A4252
	s_cselect_b32 s21, s36, s60                                // 000000004A60: 85153C24
	s_mov_b64 exec, s[20:21]                                   // 000000004A64: BEFE0114
	global_atomic_add_f32 v6, v71, s[8:9] offset:8             // 000000004A68: DD348008 00084706
	s_mov_b64 exec, s[36:37]                                   // 000000004A70: BEFE0124
	s_branch label_0E4D                                        // 000000004A74: BF82062C

0000000000004a78 <label_0821>:
	s_waitcnt vmcnt(0) lgkmcnt(0)                              // 000000004A78: BF8C0070
	s_barrier                                                  // 000000004A7C: BF8A0000
	v_mfma_f32_16x16x32_fp8_fp8 v[48:51], a[48:49], a[0:1], v[48:51]// 000000004A80: D3F30030 1CC20130
	buffer_load_dwordx4 a[56:59], v46, s[84:87], 0 offen       // 000000004A88: E05C1000 8095382E
	v_mfma_f32_16x16x32_fp8_fp8 v[48:51], a[50:51], a[2:3], v[48:51]// 000000004A90: D3F30030 1CC20532
	v_mfma_f32_16x16x32_fp8_fp8 v[48:51], a[52:53], a[4:5], v[48:51]// 000000004A98: D3F30030 1CC20934
	v_mfma_f32_16x16x32_fp8_fp8 v[48:51], a[54:55], a[6:7], v[48:51]// 000000004AA0: D3F30030 1CC20D36
	v_mfma_f32_16x16x32_fp8_fp8 v[52:55], a[48:49], a[8:9], v[52:55]// 000000004AA8: D3F30034 1CD21130
	buffer_load_dwordx4 a[60:63], v46, s[84:87], 0 offen offset:1024// 000000004AB0: E05C1400 80953C2E
	buffer_load_dword v40, s[20:23], 0 offen lds               // 000000004AB8: E0511000 80050028
	s_add_u32 m0, 0x100, s48                                   // 000000004AC0: 807C30FF 00000100
	v_mfma_f32_16x16x32_fp8_fp8 v[52:55], a[50:51], a[10:11], v[52:55]// 000000004AC8: D3F30034 1CD21532
	v_mfma_f32_16x16x32_fp8_fp8 v[52:55], a[52:53], a[12:13], v[52:55]// 000000004AD0: D3F30034 1CD21934
	buffer_load_dword v41, s[20:23], 0 offen lds               // 000000004AD8: E0511000 80050029
	s_add_u32 m0, 0x200, s48                                   // 000000004AE0: 807C30FF 00000200
	v_mfma_f32_16x16x32_fp8_fp8 v[52:55], a[54:55], a[14:15], v[52:55]// 000000004AE8: D3F30034 1CD21D36
	v_mfma_f32_16x16x32_fp8_fp8 v[56:59], a[48:49], a[16:17], v[56:59]// 000000004AF0: D3F30038 1CE22130
	buffer_load_dword v42, s[20:23], 0 offen lds               // 000000004AF8: E0511000 8005002A
	s_add_u32 m0, 0x300, s48                                   // 000000004B00: 807C30FF 00000300
	v_mfma_f32_16x16x32_fp8_fp8 v[56:59], a[50:51], a[18:19], v[56:59]// 000000004B08: D3F30038 1CE22532
	s_add_u32 s60, 0x80, s80                                   // 000000004B10: 803C50FF 00000080
	s_cmp_lt_u32 s60, s81                                      // 000000004B18: BF0A513C
	s_cselect_b32 s83, s83, 0                                  // 000000004B1C: 85538053
	v_mfma_f32_16x16x32_fp8_fp8 v[56:59], a[52:53], a[20:21], v[56:59]// 000000004B20: D3F30038 1CE22934
	buffer_load_dword v43, s[20:23], 0 offen lds               // 000000004B28: E0511000 8005002B
	s_add_u32 m0, 0x400, s48                                   // 000000004B30: 807C30FF 00000400
	v_mfma_f32_16x16x32_fp8_fp8 v[56:59], a[54:55], a[22:23], v[56:59]// 000000004B38: D3F30038 1CE22D36
	buffer_load_dword v44, s[20:23], 0 offen lds               // 000000004B40: E0511000 8005002C
	s_add_u32 m0, 0x500, s48                                   // 000000004B48: 807C30FF 00000500
	buffer_load_dword v45, s[20:23], 0 offen lds               // 000000004B50: E0511000 8005002D
	s_add_u32 m0, 0, s49                                       // 000000004B58: 807C3180
	s_waitcnt vmcnt(6)                                         // 000000004B5C: BF8C0F76
	v_mfma_f32_16x16x32_fp8_fp8 v[60:63], a[56:57], a[0:1], v[60:63]// 000000004B60: D3F3003C 1CF20138
	buffer_load_dwordx4 a[48:51], v46, s[24:27], 0 offen       // 000000004B68: E05C1000 8086302E
	v_mfma_f32_16x16x32_fp8_fp8 v[60:63], a[58:59], a[2:3], v[60:63]// 000000004B70: D3F3003C 1CF2053A
	v_mfma_f32_16x16x32_fp8_fp8 v[60:63], a[60:61], a[4:5], v[60:63]// 000000004B78: D3F3003C 1CF2093C
	ds_read_b128 a[24:27], v2 offset:6272                      // 000000004B80: DBFE1880 18000002
	ds_read_b128 a[28:31], v2 offset:6336                      // 000000004B88: DBFE18C0 1C000002
	v_mfma_f32_16x16x32_fp8_fp8 v[60:63], a[62:63], a[6:7], v[60:63]// 000000004B90: D3F3003C 1CF20D3E
	v_mfma_f32_16x16x32_fp8_fp8 v[64:67], a[56:57], a[8:9], v[64:67]// 000000004B98: D3F30040 1D021138
	buffer_load_dwordx4 a[52:55], v46, s[24:27], 0 offen offset:1024// 000000004BA0: E05C1400 8086342E
	v_mfma_f32_16x16x32_fp8_fp8 v[64:67], a[58:59], a[10:11], v[64:67]// 000000004BA8: D3F30040 1D02153A
	v_mfma_f32_16x16x32_fp8_fp8 v[64:67], a[60:61], a[12:13], v[64:67]// 000000004BB0: D3F30040 1D02193C
	ds_read_b128 a[32:35], v2 offset:6784                      // 000000004BB8: DBFE1A80 20000002
	ds_read_b128 a[36:39], v2 offset:6848                      // 000000004BC0: DBFE1AC0 24000002
	s_add_u32 s60, 0x180, s80                                  // 000000004BC8: 803C50FF 00000180
	s_cmp_lt_u32 s60, s81                                      // 000000004BD0: BF0A513C
	s_cselect_b32 s57, s57, 0                                  // 000000004BD4: 85398039
	v_mfma_f32_16x16x32_fp8_fp8 v[64:67], a[62:63], a[14:15], v[64:67]// 000000004BD8: D3F30040 1D021D3E
	s_add_u32 s60, 0x100, s80                                  // 000000004BE0: 803C50FF 00000100
	s_cmp_lt_u32 s60, s81                                      // 000000004BE8: BF0A513C
	s_cselect_b32 s58, s58, 0                                  // 000000004BEC: 853A803A
	v_mfma_f32_16x16x32_fp8_fp8 v[68:71], a[56:57], a[16:17], v[68:71]// 000000004BF0: D3F30044 1D122138
	s_add_u32 s24, s58, s24                                    // 000000004BF8: 8018183A
	s_addc_u32 s25, 0, s25                                     // 000000004BFC: 82191980
	v_mfma_f32_16x16x32_fp8_fp8 v[68:71], a[58:59], a[18:19], v[68:71]// 000000004C00: D3F30044 1D12253A
	s_add_u32 s20, s57, s20                                    // 000000004C08: 80141439
	s_addc_u32 s21, 0, s21                                     // 000000004C0C: 82151580
	v_mfma_f32_16x16x32_fp8_fp8 v[68:71], a[60:61], a[20:21], v[68:71]// 000000004C10: D3F30044 1D12293C
	ds_read_b128 a[40:43], v2 offset:7296                      // 000000004C18: DBFE1C80 28000002
	ds_read_b128 a[44:47], v2 offset:7360                      // 000000004C20: DBFE1CC0 2C000002
	s_add_u32 s84, s83, s84                                    // 000000004C28: 80545453
	s_addc_u32 s85, 0, s85                                     // 000000004C2C: 82555580
	v_mfma_f32_16x16x32_fp8_fp8 v[68:71], a[62:63], a[22:23], v[68:71]// 000000004C30: D3F30044 1D122D3E
	s_addk_i32 s80, 0x80                                       // 000000004C38: B7500080
	s_cmp_lt_i32 s80, s81                                      // 000000004C3C: BF045150
	s_cbranch_scc0 label_0908                                  // 000000004C40: BF840074
	s_waitcnt vmcnt(0) lgkmcnt(0)                              // 000000004C44: BF8C0070
	s_barrier                                                  // 000000004C48: BF8A0000
	v_mfma_f32_16x16x32_fp8_fp8 v[48:51], a[48:49], a[24:25], v[48:51]// 000000004C4C: D3F30030 1CC23130
	buffer_load_dwordx4 a[56:59], v46, s[84:87], 0 offen       // 000000004C54: E05C1000 8095382E
	v_mfma_f32_16x16x32_fp8_fp8 v[48:51], a[50:51], a[26:27], v[48:51]// 000000004C5C: D3F30030 1CC23532
	v_mfma_f32_16x16x32_fp8_fp8 v[48:51], a[52:53], a[28:29], v[48:51]// 000000004C64: D3F30030 1CC23934
	v_mfma_f32_16x16x32_fp8_fp8 v[48:51], a[54:55], a[30:31], v[48:51]// 000000004C6C: D3F30030 1CC23D36
	v_mfma_f32_16x16x32_fp8_fp8 v[52:55], a[48:49], a[32:33], v[52:55]// 000000004C74: D3F30034 1CD24130
	buffer_load_dwordx4 a[60:63], v46, s[84:87], 0 offen offset:1024// 000000004C7C: E05C1400 80953C2E
	buffer_load_dword v40, s[20:23], 0 offen lds               // 000000004C84: E0511000 80050028
	s_add_u32 m0, 0x100, s49                                   // 000000004C8C: 807C31FF 00000100
	v_mfma_f32_16x16x32_fp8_fp8 v[52:55], a[50:51], a[34:35], v[52:55]// 000000004C94: D3F30034 1CD24532
	v_mfma_f32_16x16x32_fp8_fp8 v[52:55], a[52:53], a[36:37], v[52:55]// 000000004C9C: D3F30034 1CD24934
	buffer_load_dword v41, s[20:23], 0 offen lds               // 000000004CA4: E0511000 80050029
	s_add_u32 m0, 0x200, s49                                   // 000000004CAC: 807C31FF 00000200
	v_mfma_f32_16x16x32_fp8_fp8 v[52:55], a[54:55], a[38:39], v[52:55]// 000000004CB4: D3F30034 1CD24D36
	v_mfma_f32_16x16x32_fp8_fp8 v[56:59], a[48:49], a[40:41], v[56:59]// 000000004CBC: D3F30038 1CE25130
	buffer_load_dword v42, s[20:23], 0 offen lds               // 000000004CC4: E0511000 8005002A
	s_add_u32 m0, 0x300, s49                                   // 000000004CCC: 807C31FF 00000300
	v_mfma_f32_16x16x32_fp8_fp8 v[56:59], a[50:51], a[42:43], v[56:59]// 000000004CD4: D3F30038 1CE25532
	s_add_u32 s60, 0x80, s80                                   // 000000004CDC: 803C50FF 00000080
	s_cmp_lt_u32 s60, s81                                      // 000000004CE4: BF0A513C
	s_cselect_b32 s83, s83, 0                                  // 000000004CE8: 85538053
	v_mfma_f32_16x16x32_fp8_fp8 v[56:59], a[52:53], a[44:45], v[56:59]// 000000004CEC: D3F30038 1CE25934
	buffer_load_dword v43, s[20:23], 0 offen lds               // 000000004CF4: E0511000 8005002B
	s_add_u32 m0, 0x400, s49                                   // 000000004CFC: 807C31FF 00000400
	v_mfma_f32_16x16x32_fp8_fp8 v[56:59], a[54:55], a[46:47], v[56:59]// 000000004D04: D3F30038 1CE25D36
	buffer_load_dword v44, s[20:23], 0 offen lds               // 000000004D0C: E0511000 8005002C
	s_add_u32 m0, 0x500, s49                                   // 000000004D14: 807C31FF 00000500
	buffer_load_dword v45, s[20:23], 0 offen lds               // 000000004D1C: E0511000 8005002D
	s_add_u32 m0, 0, s48                                       // 000000004D24: 807C3080
	s_waitcnt vmcnt(6)                                         // 000000004D28: BF8C0F76
	v_mfma_f32_16x16x32_fp8_fp8 v[60:63], a[56:57], a[24:25], v[60:63]// 000000004D2C: D3F3003C 1CF23138
	buffer_load_dwordx4 a[48:51], v46, s[24:27], 0 offen       // 000000004D34: E05C1000 8086302E
	v_mfma_f32_16x16x32_fp8_fp8 v[60:63], a[58:59], a[26:27], v[60:63]// 000000004D3C: D3F3003C 1CF2353A
	v_mfma_f32_16x16x32_fp8_fp8 v[60:63], a[60:61], a[28:29], v[60:63]// 000000004D44: D3F3003C 1CF2393C
	ds_read_b128 a[0:3], v2                                    // 000000004D4C: DBFE0000 00000002
	ds_read_b128 a[4:7], v2 offset:64                          // 000000004D54: DBFE0040 04000002
	v_mfma_f32_16x16x32_fp8_fp8 v[60:63], a[62:63], a[30:31], v[60:63]// 000000004D5C: D3F3003C 1CF23D3E
	v_mfma_f32_16x16x32_fp8_fp8 v[64:67], a[56:57], a[32:33], v[64:67]// 000000004D64: D3F30040 1D024138
	buffer_load_dwordx4 a[52:55], v46, s[24:27], 0 offen offset:1024// 000000004D6C: E05C1400 8086342E
	v_mfma_f32_16x16x32_fp8_fp8 v[64:67], a[58:59], a[34:35], v[64:67]// 000000004D74: D3F30040 1D02453A
	v_mfma_f32_16x16x32_fp8_fp8 v[64:67], a[60:61], a[36:37], v[64:67]// 000000004D7C: D3F30040 1D02493C
	ds_read_b128 a[8:11], v2 offset:512                        // 000000004D84: DBFE0200 08000002
	ds_read_b128 a[12:15], v2 offset:576                       // 000000004D8C: DBFE0240 0C000002
	s_add_u32 s60, 0x180, s80                                  // 000000004D94: 803C50FF 00000180
	s_cmp_lt_u32 s60, s81                                      // 000000004D9C: BF0A513C
	s_cselect_b32 s57, s57, 0                                  // 000000004DA0: 85398039
	v_mfma_f32_16x16x32_fp8_fp8 v[64:67], a[62:63], a[38:39], v[64:67]// 000000004DA4: D3F30040 1D024D3E
	s_add_u32 s60, 0x100, s80                                  // 000000004DAC: 803C50FF 00000100
	s_cmp_lt_u32 s60, s81                                      // 000000004DB4: BF0A513C
	s_cselect_b32 s58, s58, 0                                  // 000000004DB8: 853A803A
	v_mfma_f32_16x16x32_fp8_fp8 v[68:71], a[56:57], a[40:41], v[68:71]// 000000004DBC: D3F30044 1D125138
	s_add_u32 s24, s58, s24                                    // 000000004DC4: 8018183A
	s_addc_u32 s25, 0, s25                                     // 000000004DC8: 82191980
	v_mfma_f32_16x16x32_fp8_fp8 v[68:71], a[58:59], a[42:43], v[68:71]// 000000004DCC: D3F30044 1D12553A
	s_add_u32 s20, s57, s20                                    // 000000004DD4: 80141439
	s_addc_u32 s21, 0, s21                                     // 000000004DD8: 82151580
	v_mfma_f32_16x16x32_fp8_fp8 v[68:71], a[60:61], a[44:45], v[68:71]// 000000004DDC: D3F30044 1D12593C
	ds_read_b128 a[16:19], v2 offset:1024                      // 000000004DE4: DBFE0400 10000002
	ds_read_b128 a[20:23], v2 offset:1088                      // 000000004DEC: DBFE0440 14000002
	s_add_u32 s84, s83, s84                                    // 000000004DF4: 80545453
	s_addc_u32 s85, 0, s85                                     // 000000004DF8: 82555580
	v_mfma_f32_16x16x32_fp8_fp8 v[68:71], a[62:63], a[46:47], v[68:71]// 000000004DFC: D3F30044 1D125D3E
	s_addk_i32 s80, 0x80                                       // 000000004E04: B7500080
	s_cmp_lt_i32 s80, s81                                      // 000000004E08: BF045150
	s_cbranch_scc0 label_0908                                  // 000000004E0C: BF840001
	s_branch label_0821                                        // 000000004E10: BF82FF19

0000000000004e14 <label_0908>:
	v_mul_f32_dpp v48, v24, v48 row_newbcast:0 row_mask:0xf bank_mask:0xf// 000000004E14: 0A6060FA FF015018
	v_mul_f32_dpp v49, v24, v49 row_newbcast:1 row_mask:0xf bank_mask:0xf// 000000004E1C: 0A6262FA FF015118
	v_mul_f32_dpp v50, v24, v50 row_newbcast:2 row_mask:0xf bank_mask:0xf// 000000004E24: 0A6464FA FF015218
	v_mul_f32_dpp v51, v24, v51 row_newbcast:3 row_mask:0xf bank_mask:0xf// 000000004E2C: 0A6666FA FF015318
	v_mul_f32_dpp v52, v24, v52 row_newbcast:0 row_mask:0xf bank_mask:0xf// 000000004E34: 0A6868FA FF015018
	v_mul_f32_dpp v53, v24, v53 row_newbcast:1 row_mask:0xf bank_mask:0xf// 000000004E3C: 0A6A6AFA FF015118
	v_mul_f32_dpp v54, v24, v54 row_newbcast:2 row_mask:0xf bank_mask:0xf// 000000004E44: 0A6C6CFA FF015218
	v_mul_f32_dpp v55, v24, v55 row_newbcast:3 row_mask:0xf bank_mask:0xf// 000000004E4C: 0A6E6EFA FF015318
	v_mul_f32_dpp v56, v24, v56 row_newbcast:0 row_mask:0xf bank_mask:0xf// 000000004E54: 0A7070FA FF015018
	v_mul_f32_dpp v57, v24, v57 row_newbcast:1 row_mask:0xf bank_mask:0xf// 000000004E5C: 0A7272FA FF015118
	v_mul_f32_dpp v58, v24, v58 row_newbcast:2 row_mask:0xf bank_mask:0xf// 000000004E64: 0A7474FA FF015218
	v_mul_f32_dpp v59, v24, v59 row_newbcast:3 row_mask:0xf bank_mask:0xf// 000000004E6C: 0A7676FA FF015318
	v_mul_f32_dpp v60, v26, v60 row_newbcast:0 row_mask:0xf bank_mask:0xf// 000000004E74: 0A7878FA FF01501A
	v_mul_f32_dpp v61, v26, v61 row_newbcast:1 row_mask:0xf bank_mask:0xf// 000000004E7C: 0A7A7AFA FF01511A
	v_mul_f32_dpp v62, v26, v62 row_newbcast:2 row_mask:0xf bank_mask:0xf// 000000004E84: 0A7C7CFA FF01521A
	v_mul_f32_dpp v63, v26, v63 row_newbcast:3 row_mask:0xf bank_mask:0xf// 000000004E8C: 0A7E7EFA FF01531A
	v_mul_f32_dpp v64, v26, v64 row_newbcast:0 row_mask:0xf bank_mask:0xf// 000000004E94: 0A8080FA FF01501A
	v_mul_f32_dpp v65, v26, v65 row_newbcast:1 row_mask:0xf bank_mask:0xf// 000000004E9C: 0A8282FA FF01511A
	v_mul_f32_dpp v66, v26, v66 row_newbcast:2 row_mask:0xf bank_mask:0xf// 000000004EA4: 0A8484FA FF01521A
	v_mul_f32_dpp v67, v26, v67 row_newbcast:3 row_mask:0xf bank_mask:0xf// 000000004EAC: 0A8686FA FF01531A
	v_mul_f32_dpp v68, v26, v68 row_newbcast:0 row_mask:0xf bank_mask:0xf// 000000004EB4: 0A8888FA FF01501A
	v_mul_f32_dpp v69, v26, v69 row_newbcast:1 row_mask:0xf bank_mask:0xf// 000000004EBC: 0A8A8AFA FF01511A
	v_mul_f32_dpp v70, v26, v70 row_newbcast:2 row_mask:0xf bank_mask:0xf// 000000004EC4: 0A8C8CFA FF01521A
	v_mul_f32_dpp v71, v26, v71 row_newbcast:3 row_mask:0xf bank_mask:0xf// 000000004ECC: 0A8E8EFA FF01531A
	v_mov_b32_e32 v4, v31                                      // 000000004ED4: 7E08031F
	v_mov_b32_e32 v5, v4                                       // 000000004ED8: 7E0A0304
	v_pk_mul_f32 v[48:49], v[4:5], v[48:49]                    // 000000004EDC: D3B14030 18026104
	v_pk_mul_f32 v[60:61], v[4:5], v[60:61]                    // 000000004EE4: D3B1403C 18027904
	v_pk_mul_f32 v[50:51], v[4:5], v[50:51]                    // 000000004EEC: D3B14032 18026504
	v_pk_mul_f32 v[62:63], v[4:5], v[62:63]                    // 000000004EF4: D3B1403E 18027D04
	v_mov_b32_e32 v4, v32                                      // 000000004EFC: 7E080320
	v_mov_b32_e32 v5, v4                                       // 000000004F00: 7E0A0304
	v_pk_mul_f32 v[52:53], v[4:5], v[52:53]                    // 000000004F04: D3B14034 18026904
	v_pk_mul_f32 v[64:65], v[4:5], v[64:65]                    // 000000004F0C: D3B14040 18028104
	v_pk_mul_f32 v[54:55], v[4:5], v[54:55]                    // 000000004F14: D3B14036 18026D04
	v_pk_mul_f32 v[66:67], v[4:5], v[66:67]                    // 000000004F1C: D3B14042 18028504
	v_mov_b32_e32 v4, v33                                      // 000000004F24: 7E080321
	v_mov_b32_e32 v5, v4                                       // 000000004F28: 7E0A0304
	v_pk_mul_f32 v[56:57], v[4:5], v[56:57]                    // 000000004F2C: D3B14038 18027104
	v_pk_mul_f32 v[68:69], v[4:5], v[68:69]                    // 000000004F34: D3B14044 18028904
	v_pk_mul_f32 v[58:59], v[4:5], v[58:59]                    // 000000004F3C: D3B1403A 18027504
	v_pk_mul_f32 v[70:71], v[4:5], v[70:71]                    // 000000004F44: D3B14046 18028D04
	s_cmp_eq_u32 s88, 0                                        // 000000004F4C: BF068058
	s_cbranch_scc0 label_0BA7                                  // 000000004F50: BF84024F
	s_cmp_eq_u32 s89, 0                                        // 000000004F54: BF068059
	s_cbranch_scc1 label_09D7                                  // 000000004F58: BF85007D
	v_mov_b32_e32 v8, v1                                       // 000000004F5C: 7E100301
	v_mov_b32_e32 v9, v1                                       // 000000004F60: 7E120301
	s_mov_b32 s60, s6                                          // 000000004F64: BEBC0006
	s_mov_b32 s61, s6                                          // 000000004F68: BEBD0006
	v_pk_mul_f32 v[4:5], v[48:49], v[48:49]                    // 000000004F6C: D3B14004 18026130
	v_pk_mul_f32 v[6:7], v[50:51], v[50:51]                    // 000000004F74: D3B14006 18026532
	v_pk_fma_f32 v[4:5], v[4:5], s[78:79], v[8:9]              // 000000004F7C: D3B04004 1C209D04
	v_pk_fma_f32 v[6:7], v[6:7], s[78:79], v[8:9]              // 000000004F84: D3B04006 1C209D06
	v_pk_mul_f32 v[4:5], v[4:5], v[48:49]                      // 000000004F8C: D3B14004 18026104
	v_pk_mul_f32 v[6:7], v[6:7], v[50:51]                      // 000000004F94: D3B14006 18026506
	v_pk_mul_f32 v[4:5], v[4:5], s[60:61]                      // 000000004F9C: D3B14004 18007904
	v_pk_mul_f32 v[6:7], v[6:7], s[60:61]                      // 000000004FA4: D3B14006 18007906
	v_exp_f32_e32 v4, v4                                       // 000000004FAC: 7E084104
	v_exp_f32_e32 v5, v5                                       // 000000004FB0: 7E0A4105
	v_exp_f32_e32 v6, v6                                       // 000000004FB4: 7E0C4106
	v_exp_f32_e32 v7, v7                                       // 000000004FB8: 7E0E4107
	v_add_f32_e64 v4, v4, 1.0                                  // 000000004FBC: D1010004 0001E504
	v_add_f32_e64 v5, v5, 1.0                                  // 000000004FC4: D1010005 0001E505
	v_add_f32_e64 v6, v6, 1.0                                  // 000000004FCC: D1010006 0001E506
	v_add_f32_e64 v7, v7, 1.0                                  // 000000004FD4: D1010007 0001E507
	v_rcp_f32_e32 v4, v4                                       // 000000004FDC: 7E084504
	v_rcp_f32_e32 v5, v5                                       // 000000004FE0: 7E0A4505
	v_rcp_f32_e32 v6, v6                                       // 000000004FE4: 7E0C4506
	v_rcp_f32_e32 v7, v7                                       // 000000004FE8: 7E0E4507
	v_mul_f32_e32 v48, v48, v4                                 // 000000004FEC: 0A600930
	v_mul_f32_e32 v49, v49, v5                                 // 000000004FF0: 0A620B31
	v_mul_f32_e32 v50, v50, v6                                 // 000000004FF4: 0A640D32
	v_mul_f32_e32 v51, v51, v7                                 // 000000004FF8: 0A660F33
	v_mul_f32_e32 v48, v48, v60                                // 000000004FFC: 0A607930
	v_mul_f32_e32 v49, v49, v61                                // 000000005000: 0A627B31
	v_mul_f32_e32 v50, v50, v62                                // 000000005004: 0A647D32
	v_mul_f32_e32 v51, v51, v63                                // 000000005008: 0A667F33
	v_pk_mul_f32 v[4:5], v[52:53], v[52:53]                    // 00000000500C: D3B14004 18026934
	v_pk_mul_f32 v[6:7], v[54:55], v[54:55]                    // 000000005014: D3B14006 18026D36
	v_pk_fma_f32 v[4:5], v[4:5], s[78:79], v[8:9]              // 00000000501C: D3B04004 1C209D04
	v_pk_fma_f32 v[6:7], v[6:7], s[78:79], v[8:9]              // 000000005024: D3B04006 1C209D06
	v_pk_mul_f32 v[4:5], v[4:5], v[52:53]                      // 00000000502C: D3B14004 18026904
	v_pk_mul_f32 v[6:7], v[6:7], v[54:55]                      // 000000005034: D3B14006 18026D06
	v_pk_mul_f32 v[4:5], v[4:5], s[60:61]                      // 00000000503C: D3B14004 18007904
	v_pk_mul_f32 v[6:7], v[6:7], s[60:61]                      // 000000005044: D3B14006 18007906
	v_exp_f32_e32 v4, v4                                       // 00000000504C: 7E084104
	v_exp_f32_e32 v5, v5                                       // 000000005050: 7E0A4105
	v_exp_f32_e32 v6, v6                                       // 000000005054: 7E0C4106
	v_exp_f32_e32 v7, v7                                       // 000000005058: 7E0E4107
	v_add_f32_e64 v4, v4, 1.0                                  // 00000000505C: D1010004 0001E504
	v_add_f32_e64 v5, v5, 1.0                                  // 000000005064: D1010005 0001E505
	v_add_f32_e64 v6, v6, 1.0                                  // 00000000506C: D1010006 0001E506
	v_add_f32_e64 v7, v7, 1.0                                  // 000000005074: D1010007 0001E507
	v_rcp_f32_e32 v4, v4                                       // 00000000507C: 7E084504
	v_rcp_f32_e32 v5, v5                                       // 000000005080: 7E0A4505
	v_rcp_f32_e32 v6, v6                                       // 000000005084: 7E0C4506
	v_rcp_f32_e32 v7, v7                                       // 000000005088: 7E0E4507
	v_mul_f32_e32 v52, v52, v4                                 // 00000000508C: 0A680934
	v_mul_f32_e32 v53, v53, v5                                 // 000000005090: 0A6A0B35
	v_mul_f32_e32 v54, v54, v6                                 // 000000005094: 0A6C0D36
	v_mul_f32_e32 v55, v55, v7                                 // 000000005098: 0A6E0F37
	v_mul_f32_e32 v52, v52, v64                                // 00000000509C: 0A688134
	v_mul_f32_e32 v53, v53, v65                                // 0000000050A0: 0A6A8335
	v_mul_f32_e32 v54, v54, v66                                // 0000000050A4: 0A6C8536
	v_mul_f32_e32 v55, v55, v67                                // 0000000050A8: 0A6E8737
	v_pk_mul_f32 v[4:5], v[56:57], v[56:57]                    // 0000000050AC: D3B14004 18027138
	v_pk_mul_f32 v[6:7], v[58:59], v[58:59]                    // 0000000050B4: D3B14006 1802753A
	v_pk_fma_f32 v[4:5], v[4:5], s[78:79], v[8:9]              // 0000000050BC: D3B04004 1C209D04
	v_pk_fma_f32 v[6:7], v[6:7], s[78:79], v[8:9]              // 0000000050C4: D3B04006 1C209D06
	v_pk_mul_f32 v[4:5], v[4:5], v[56:57]                      // 0000000050CC: D3B14004 18027104
	v_pk_mul_f32 v[6:7], v[6:7], v[58:59]                      // 0000000050D4: D3B14006 18027506
	v_pk_mul_f32 v[4:5], v[4:5], s[60:61]                      // 0000000050DC: D3B14004 18007904
	v_pk_mul_f32 v[6:7], v[6:7], s[60:61]                      // 0000000050E4: D3B14006 18007906
	v_exp_f32_e32 v4, v4                                       // 0000000050EC: 7E084104
	v_exp_f32_e32 v5, v5                                       // 0000000050F0: 7E0A4105
	v_exp_f32_e32 v6, v6                                       // 0000000050F4: 7E0C4106
	v_exp_f32_e32 v7, v7                                       // 0000000050F8: 7E0E4107
	v_add_f32_e64 v4, v4, 1.0                                  // 0000000050FC: D1010004 0001E504
	v_add_f32_e64 v5, v5, 1.0                                  // 000000005104: D1010005 0001E505
	v_add_f32_e64 v6, v6, 1.0                                  // 00000000510C: D1010006 0001E506
	v_add_f32_e64 v7, v7, 1.0                                  // 000000005114: D1010007 0001E507
	v_rcp_f32_e32 v4, v4                                       // 00000000511C: 7E084504
	v_rcp_f32_e32 v5, v5                                       // 000000005120: 7E0A4505
	v_rcp_f32_e32 v6, v6                                       // 000000005124: 7E0C4506
	v_rcp_f32_e32 v7, v7                                       // 000000005128: 7E0E4507
	v_mul_f32_e32 v56, v56, v4                                 // 00000000512C: 0A700938
	v_mul_f32_e32 v57, v57, v5                                 // 000000005130: 0A720B39
	v_mul_f32_e32 v58, v58, v6                                 // 000000005134: 0A740D3A
	v_mul_f32_e32 v59, v59, v7                                 // 000000005138: 0A760F3B
	v_mul_f32_e32 v56, v56, v68                                // 00000000513C: 0A708938
	v_mul_f32_e32 v57, v57, v69                                // 000000005140: 0A728B39
	v_mul_f32_e32 v58, v58, v70                                // 000000005144: 0A748D3A
	v_mul_f32_e32 v59, v59, v71                                // 000000005148: 0A768F3B
	s_branch label_0A37                                        // 00000000514C: BF820060

0000000000005150 <label_09D7>:
	v_mul_f32_e64 v4, -v48, s6                                 // 000000005150: D1050004 20000D30
	v_mul_f32_e64 v5, -v49, s6                                 // 000000005158: D1050005 20000D31
	v_mul_f32_e64 v6, -v50, s6                                 // 000000005160: D1050006 20000D32
	v_mul_f32_e64 v7, -v51, s6                                 // 000000005168: D1050007 20000D33
	v_exp_f32_e32 v4, v4                                       // 000000005170: 7E084104
	v_exp_f32_e32 v5, v5                                       // 000000005174: 7E0A4105
	v_exp_f32_e32 v6, v6                                       // 000000005178: 7E0C4106
	v_exp_f32_e32 v7, v7                                       // 00000000517C: 7E0E4107
	v_add_f32_e64 v4, v4, 1.0                                  // 000000005180: D1010004 0001E504
	v_add_f32_e64 v5, v5, 1.0                                  // 000000005188: D1010005 0001E505
	v_add_f32_e64 v6, v6, 1.0                                  // 000000005190: D1010006 0001E506
	v_add_f32_e64 v7, v7, 1.0                                  // 000000005198: D1010007 0001E507
	v_rcp_f32_e32 v4, v4                                       // 0000000051A0: 7E084504
	v_rcp_f32_e32 v5, v5                                       // 0000000051A4: 7E0A4505
	v_rcp_f32_e32 v6, v6                                       // 0000000051A8: 7E0C4506
	v_rcp_f32_e32 v7, v7                                       // 0000000051AC: 7E0E4507
	v_mul_f32_e32 v48, v48, v4                                 // 0000000051B0: 0A600930
	v_mul_f32_e32 v49, v49, v5                                 // 0000000051B4: 0A620B31
	v_mul_f32_e32 v50, v50, v6                                 // 0000000051B8: 0A640D32
	v_mul_f32_e32 v51, v51, v7                                 // 0000000051BC: 0A660F33
	v_mul_f32_e32 v48, v48, v60                                // 0000000051C0: 0A607930
	v_mul_f32_e32 v49, v49, v61                                // 0000000051C4: 0A627B31
	v_mul_f32_e32 v50, v50, v62                                // 0000000051C8: 0A647D32
	v_mul_f32_e32 v51, v51, v63                                // 0000000051CC: 0A667F33
	v_mul_f32_e64 v4, -v52, s6                                 // 0000000051D0: D1050004 20000D34
	v_mul_f32_e64 v5, -v53, s6                                 // 0000000051D8: D1050005 20000D35
	v_mul_f32_e64 v6, -v54, s6                                 // 0000000051E0: D1050006 20000D36
	v_mul_f32_e64 v7, -v55, s6                                 // 0000000051E8: D1050007 20000D37
	v_exp_f32_e32 v4, v4                                       // 0000000051F0: 7E084104
	v_exp_f32_e32 v5, v5                                       // 0000000051F4: 7E0A4105
	v_exp_f32_e32 v6, v6                                       // 0000000051F8: 7E0C4106
	v_exp_f32_e32 v7, v7                                       // 0000000051FC: 7E0E4107
	v_add_f32_e64 v4, v4, 1.0                                  // 000000005200: D1010004 0001E504
	v_add_f32_e64 v5, v5, 1.0                                  // 000000005208: D1010005 0001E505
	v_add_f32_e64 v6, v6, 1.0                                  // 000000005210: D1010006 0001E506
	v_add_f32_e64 v7, v7, 1.0                                  // 000000005218: D1010007 0001E507
	v_rcp_f32_e32 v4, v4                                       // 000000005220: 7E084504
	v_rcp_f32_e32 v5, v5                                       // 000000005224: 7E0A4505
	v_rcp_f32_e32 v6, v6                                       // 000000005228: 7E0C4506
	v_rcp_f32_e32 v7, v7                                       // 00000000522C: 7E0E4507
	v_mul_f32_e32 v52, v52, v4                                 // 000000005230: 0A680934
	v_mul_f32_e32 v53, v53, v5                                 // 000000005234: 0A6A0B35
	v_mul_f32_e32 v54, v54, v6                                 // 000000005238: 0A6C0D36
	v_mul_f32_e32 v55, v55, v7                                 // 00000000523C: 0A6E0F37
	v_mul_f32_e32 v52, v52, v64                                // 000000005240: 0A688134
	v_mul_f32_e32 v53, v53, v65                                // 000000005244: 0A6A8335
	v_mul_f32_e32 v54, v54, v66                                // 000000005248: 0A6C8536
	v_mul_f32_e32 v55, v55, v67                                // 00000000524C: 0A6E8737
	v_mul_f32_e64 v4, -v56, s6                                 // 000000005250: D1050004 20000D38
	v_mul_f32_e64 v5, -v57, s6                                 // 000000005258: D1050005 20000D39
	v_mul_f32_e64 v6, -v58, s6                                 // 000000005260: D1050006 20000D3A
	v_mul_f32_e64 v7, -v59, s6                                 // 000000005268: D1050007 20000D3B
	v_exp_f32_e32 v4, v4                                       // 000000005270: 7E084104
	v_exp_f32_e32 v5, v5                                       // 000000005274: 7E0A4105
	v_exp_f32_e32 v6, v6                                       // 000000005278: 7E0C4106
	v_exp_f32_e32 v7, v7                                       // 00000000527C: 7E0E4107
	v_add_f32_e64 v4, v4, 1.0                                  // 000000005280: D1010004 0001E504
	v_add_f32_e64 v5, v5, 1.0                                  // 000000005288: D1010005 0001E505
	v_add_f32_e64 v6, v6, 1.0                                  // 000000005290: D1010006 0001E506
	v_add_f32_e64 v7, v7, 1.0                                  // 000000005298: D1010007 0001E507
	v_rcp_f32_e32 v4, v4                                       // 0000000052A0: 7E084504
	v_rcp_f32_e32 v5, v5                                       // 0000000052A4: 7E0A4505
	v_rcp_f32_e32 v6, v6                                       // 0000000052A8: 7E0C4506
	v_rcp_f32_e32 v7, v7                                       // 0000000052AC: 7E0E4507
	v_mul_f32_e32 v56, v56, v4                                 // 0000000052B0: 0A700938
	v_mul_f32_e32 v57, v57, v5                                 // 0000000052B4: 0A720B39
	v_mul_f32_e32 v58, v58, v6                                 // 0000000052B8: 0A740D3A
	v_mul_f32_e32 v59, v59, v7                                 // 0000000052BC: 0A760F3B
	v_mul_f32_e32 v56, v56, v68                                // 0000000052C0: 0A708938
	v_mul_f32_e32 v57, v57, v69                                // 0000000052C4: 0A728B39
	v_mul_f32_e32 v58, v58, v70                                // 0000000052C8: 0A748D3A
	v_mul_f32_e32 v59, v59, v71                                // 0000000052CC: 0A768F3B

00000000000052d0 <label_0A37>:
	v_cmp_u_f32_e64 s[46:47], v48, v48                         // 0000000052D0: D048002E 00026130
	v_add3_u32 v16, v48, v19, 1                                // 0000000052D8: D1FF0010 02062730
	v_cndmask_b32_e64 v4, v16, v18, s[46:47]                   // 0000000052E0: D1000004 00BA2510
	v_cmp_u_f32_e64 s[46:47], v49, v49                         // 0000000052E8: D048002E 00026331
	v_add3_u32 v16, v49, v19, 1                                // 0000000052F0: D1FF0010 02062731
	v_cndmask_b32_e64 v5, v16, v18, s[46:47]                   // 0000000052F8: D1000005 00BA2510
	v_perm_b32 v48, v5, v4, s52                                // 000000005300: D1ED0030 00D20905
	v_cmp_u_f32_e64 s[46:47], v50, v50                         // 000000005308: D048002E 00026532
	v_add3_u32 v16, v50, v19, 1                                // 000000005310: D1FF0010 02062732
	v_cndmask_b32_e64 v4, v16, v18, s[46:47]                   // 000000005318: D1000004 00BA2510
	v_cmp_u_f32_e64 s[46:47], v51, v51                         // 000000005320: D048002E 00026733
	v_add3_u32 v16, v51, v19, 1                                // 000000005328: D1FF0010 02062733
	v_cndmask_b32_e64 v5, v16, v18, s[46:47]                   // 000000005330: D1000005 00BA2510
	v_perm_b32 v49, v5, v4, s52                                // 000000005338: D1ED0031 00D20905
	v_cmp_u_f32_e64 s[46:47], v52, v52                         // 000000005340: D048002E 00026934
	v_add3_u32 v16, v52, v19, 1                                // 000000005348: D1FF0010 02062734
	v_cndmask_b32_e64 v4, v16, v18, s[46:47]                   // 000000005350: D1000004 00BA2510
	v_cmp_u_f32_e64 s[46:47], v53, v53                         // 000000005358: D048002E 00026B35
	v_add3_u32 v16, v53, v19, 1                                // 000000005360: D1FF0010 02062735
	v_cndmask_b32_e64 v5, v16, v18, s[46:47]                   // 000000005368: D1000005 00BA2510
	v_perm_b32 v50, v5, v4, s52                                // 000000005370: D1ED0032 00D20905
	v_cmp_u_f32_e64 s[46:47], v54, v54                         // 000000005378: D048002E 00026D36
	v_add3_u32 v16, v54, v19, 1                                // 000000005380: D1FF0010 02062736
	v_cndmask_b32_e64 v4, v16, v18, s[46:47]                   // 000000005388: D1000004 00BA2510
	v_cmp_u_f32_e64 s[46:47], v55, v55                         // 000000005390: D048002E 00026F37
	v_add3_u32 v16, v55, v19, 1                                // 000000005398: D1FF0010 02062737
	v_cndmask_b32_e64 v5, v16, v18, s[46:47]                   // 0000000053A0: D1000005 00BA2510
	v_perm_b32 v51, v5, v4, s52                                // 0000000053A8: D1ED0033 00D20905
	v_cmp_u_f32_e64 s[46:47], v56, v56                         // 0000000053B0: D048002E 00027138
	v_add3_u32 v16, v56, v19, 1                                // 0000000053B8: D1FF0010 02062738
	v_cndmask_b32_e64 v4, v16, v18, s[46:47]                   // 0000000053C0: D1000004 00BA2510
	v_cmp_u_f32_e64 s[46:47], v57, v57                         // 0000000053C8: D048002E 00027339
	v_add3_u32 v16, v57, v19, 1                                // 0000000053D0: D1FF0010 02062739
	v_cndmask_b32_e64 v5, v16, v18, s[46:47]                   // 0000000053D8: D1000005 00BA2510
	v_perm_b32 v52, v5, v4, s52                                // 0000000053E0: D1ED0034 00D20905
	v_cmp_u_f32_e64 s[46:47], v58, v58                         // 0000000053E8: D048002E 0002753A
	v_add3_u32 v16, v58, v19, 1                                // 0000000053F0: D1FF0010 0206273A
	v_cndmask_b32_e64 v4, v16, v18, s[46:47]                   // 0000000053F8: D1000004 00BA2510
	v_cmp_u_f32_e64 s[46:47], v59, v59                         // 000000005400: D048002E 0002773B
	v_add3_u32 v16, v59, v19, 1                                // 000000005408: D1FF0010 0206273B
	v_cndmask_b32_e64 v5, v16, v18, s[46:47]                   // 000000005410: D1000005 00BA2510
	v_perm_b32 v53, v5, v4, s52                                // 000000005418: D1ED0035 00D20905
	ds_write_b64 v20, v[48:49]                                 // 000000005420: D89A0000 00003014
	ds_write_b64 v20, v[50:51] offset:2176                     // 000000005428: D89A0880 00003214
	ds_write_b64 v20, v[52:53] offset:4352                     // 000000005430: D89A1100 00003414
	v_lshrrev_b32_e32 v4, 5, v0                                // 000000005438: 20080085
	v_xor_b32_e32 v5, 1, v4                                    // 00000000543C: 2A0A0881
	s_mul_i32 s60, s65, 2                                      // 000000005440: 923C8241
	s_cmp_eq_u32 s88, 0                                        // 000000005444: BF068058
	s_cselect_b32 s61, 1, 4                                    // 000000005448: 853D8481
	s_mul_i32 s60, s61, s60                                    // 00000000544C: 923C3C3D
	v_readlane_b32 s82, v3, 0                                  // 000000005450: D2890052 00010103
	s_lshr_b32 s61, s82, 24                                    // 000000005458: 8F3D9852
	s_and_b32 s82, s82, 0xffffff                               // 00000000545C: 8652FF52 00FFFFFF
	s_mul_i32 s82, s82, s71                                    // 000000005464: 92524752
	s_mul_i32 s61, s60, s61                                    // 000000005468: 923D3D3C
	s_add_u32 s82, s82, s61                                    // 00000000546C: 80523D52
	v_mul_lo_u32 v6, v5, s82                                   // 000000005470: D2850006 0000A505
	v_readlane_b32 s82, v3, 1                                  // 000000005478: D2890052 00010303
	s_lshr_b32 s61, s82, 24                                    // 000000005480: 8F3D9852
	s_and_b32 s82, s82, 0xffffff                               // 000000005484: 8652FF52 00FFFFFF
	s_mul_i32 s82, s82, s71                                    // 00000000548C: 92524752
	s_mul_i32 s61, s60, s61                                    // 000000005490: 923D3D3C
	s_add_u32 s82, s82, s61                                    // 000000005494: 80523D52
	v_mul_lo_u32 v7, v4, s82                                   // 000000005498: D2850007 0000A504
	v_add_u32_e32 v40, v6, v7                                  // 0000000054A0: 68500F06
	v_readlane_b32 s82, v3, 2                                  // 0000000054A4: D2890052 00010503
	s_lshr_b32 s61, s82, 24                                    // 0000000054AC: 8F3D9852
	s_and_b32 s82, s82, 0xffffff                               // 0000000054B0: 8652FF52 00FFFFFF
	s_mul_i32 s82, s82, s71                                    // 0000000054B8: 92524752
	s_mul_i32 s61, s60, s61                                    // 0000000054BC: 923D3D3C
	s_add_u32 s82, s82, s61                                    // 0000000054C0: 80523D52
	v_mul_lo_u32 v6, v5, s82                                   // 0000000054C4: D2850006 0000A505
	v_readlane_b32 s82, v3, 3                                  // 0000000054CC: D2890052 00010703
	s_lshr_b32 s61, s82, 24                                    // 0000000054D4: 8F3D9852
	s_and_b32 s82, s82, 0xffffff                               // 0000000054D8: 8652FF52 00FFFFFF
	s_mul_i32 s82, s82, s71                                    // 0000000054E0: 92524752
	s_mul_i32 s61, s60, s61                                    // 0000000054E4: 923D3D3C
	s_add_u32 s82, s82, s61                                    // 0000000054E8: 80523D52
	v_mul_lo_u32 v7, v4, s82                                   // 0000000054EC: D2850007 0000A504
	v_add_u32_e32 v41, v6, v7                                  // 0000000054F4: 68520F06
	v_readlane_b32 s82, v3, 4                                  // 0000000054F8: D2890052 00010903
	s_lshr_b32 s61, s82, 24                                    // 000000005500: 8F3D9852
	s_and_b32 s82, s82, 0xffffff                               // 000000005504: 8652FF52 00FFFFFF
	s_mul_i32 s82, s82, s71                                    // 00000000550C: 92524752
	s_mul_i32 s61, s60, s61                                    // 000000005510: 923D3D3C
	s_add_u32 s82, s82, s61                                    // 000000005514: 80523D52
	v_mul_lo_u32 v6, v5, s82                                   // 000000005518: D2850006 0000A505
	v_readlane_b32 s82, v3, 5                                  // 000000005520: D2890052 00010B03
	s_lshr_b32 s61, s82, 24                                    // 000000005528: 8F3D9852
	s_and_b32 s82, s82, 0xffffff                               // 00000000552C: 8652FF52 00FFFFFF
	s_mul_i32 s82, s82, s71                                    // 000000005534: 92524752
	s_mul_i32 s61, s60, s61                                    // 000000005538: 923D3D3C
	s_add_u32 s82, s82, s61                                    // 00000000553C: 80523D52
	v_mul_lo_u32 v7, v4, s82                                   // 000000005540: D2850007 0000A504
	v_add_u32_e32 v42, v6, v7                                  // 000000005548: 68540F06
	v_readlane_b32 s82, v3, 6                                  // 00000000554C: D2890052 00010D03
	s_lshr_b32 s61, s82, 24                                    // 000000005554: 8F3D9852
	s_and_b32 s82, s82, 0xffffff                               // 000000005558: 8652FF52 00FFFFFF
	s_mul_i32 s82, s82, s71                                    // 000000005560: 92524752
	s_mul_i32 s61, s60, s61                                    // 000000005564: 923D3D3C
	s_add_u32 s82, s82, s61                                    // 000000005568: 80523D52
	v_mul_lo_u32 v6, v5, s82                                   // 00000000556C: D2850006 0000A505
	v_readlane_b32 s82, v3, 7                                  // 000000005574: D2890052 00010F03
	s_lshr_b32 s61, s82, 24                                    // 00000000557C: 8F3D9852
	s_and_b32 s82, s82, 0xffffff                               // 000000005580: 8652FF52 00FFFFFF
	s_mul_i32 s82, s82, s71                                    // 000000005588: 92524752
	s_mul_i32 s61, s60, s61                                    // 00000000558C: 923D3D3C
	s_add_u32 s82, s82, s61                                    // 000000005590: 80523D52
	v_mul_lo_u32 v7, v4, s82                                   // 000000005594: D2850007 0000A504
	v_add_u32_e32 v43, v6, v7                                  // 00000000559C: 68560F06
	v_readlane_b32 s82, v3, 8                                  // 0000000055A0: D2890052 00011103
	s_lshr_b32 s61, s82, 24                                    // 0000000055A8: 8F3D9852
	s_and_b32 s82, s82, 0xffffff                               // 0000000055AC: 8652FF52 00FFFFFF
	s_mul_i32 s82, s82, s71                                    // 0000000055B4: 92524752
	s_mul_i32 s61, s60, s61                                    // 0000000055B8: 923D3D3C
	s_add_u32 s82, s82, s61                                    // 0000000055BC: 80523D52
	v_mul_lo_u32 v6, v5, s82                                   // 0000000055C0: D2850006 0000A505
	v_readlane_b32 s82, v3, 9                                  // 0000000055C8: D2890052 00011303
	s_lshr_b32 s61, s82, 24                                    // 0000000055D0: 8F3D9852
	s_and_b32 s82, s82, 0xffffff                               // 0000000055D4: 8652FF52 00FFFFFF
	s_mul_i32 s82, s82, s71                                    // 0000000055DC: 92524752
	s_mul_i32 s61, s60, s61                                    // 0000000055E0: 923D3D3C
	s_add_u32 s82, s82, s61                                    // 0000000055E4: 80523D52
	v_mul_lo_u32 v7, v4, s82                                   // 0000000055E8: D2850007 0000A504
	v_add_u32_e32 v44, v6, v7                                  // 0000000055F0: 68580F06
	v_readlane_b32 s82, v3, 10                                 // 0000000055F4: D2890052 00011503
	s_lshr_b32 s61, s82, 24                                    // 0000000055FC: 8F3D9852
	s_and_b32 s82, s82, 0xffffff                               // 000000005600: 8652FF52 00FFFFFF
	s_mul_i32 s82, s82, s71                                    // 000000005608: 92524752
	s_mul_i32 s61, s60, s61                                    // 00000000560C: 923D3D3C
	s_add_u32 s82, s82, s61                                    // 000000005610: 80523D52
	v_mul_lo_u32 v6, v5, s82                                   // 000000005614: D2850006 0000A505
	v_readlane_b32 s82, v3, 11                                 // 00000000561C: D2890052 00011703
	s_lshr_b32 s61, s82, 24                                    // 000000005624: 8F3D9852
	s_and_b32 s82, s82, 0xffffff                               // 000000005628: 8652FF52 00FFFFFF
	s_mul_i32 s82, s82, s71                                    // 000000005630: 92524752
	s_mul_i32 s61, s60, s61                                    // 000000005634: 923D3D3C
	s_add_u32 s82, s82, s61                                    // 000000005638: 80523D52
	v_mul_lo_u32 v7, v4, s82                                   // 00000000563C: D2850007 0000A504
	v_add_u32_e32 v45, v6, v7                                  // 000000005644: 685A0F06
	v_and_b32_e32 v4, 31, v0                                   // 000000005648: 2608009F
	v_lshrrev_b32_e32 v4, 1, v4                                // 00000000564C: 20080881
	s_cmp_eq_u32 s88, 0                                        // 000000005650: BF068058
	s_cselect_b32 s61, 2, 4                                    // 000000005654: 853D8482
	v_mul_lo_u32 v4, v4, s61                                   // 000000005658: D2850004 00007B04
	v_and_b32_e64 v5, v0, 1                                    // 000000005660: D1130005 00010300
	v_add_u32_e32 v4, v4, v5                                   // 000000005668: 68080B04
	v_lshlrev_b32_e32 v4, 2, v4                                // 00000000566C: 24080882
	v_add_u32_e32 v40, v40, v4                                 // 000000005670: 68500928
	v_add_u32_e32 v41, v41, v4                                 // 000000005674: 68520929
	v_add_u32_e32 v42, v42, v4                                 // 000000005678: 6854092A
	v_add_u32_e32 v43, v43, v4                                 // 00000000567C: 6856092B
	v_add_u32_e32 v44, v44, v4                                 // 000000005680: 6858092C
	v_add_u32_e32 v45, v45, v4                                 // 000000005684: 685A092D
	s_waitcnt lgkmcnt(0)                                       // 000000005688: BF8CC07F
	s_barrier                                                  // 00000000568C: BF8A0000
	ds_read_b32 v48, v21                                       // 000000005690: D86C0000 30000015
	ds_read_b32 v49, v21 offset:64                             // 000000005698: D86C0040 31000015
	ds_read_b32 v50, v21 offset:2176                           // 0000000056A0: D86C0880 32000015
	ds_read_b32 v51, v21 offset:2240                           // 0000000056A8: D86C08C0 33000015
	ds_read_b32 v52, v21 offset:4352                           // 0000000056B0: D86C1100 34000015
	ds_read_b32 v53, v21 offset:4416                           // 0000000056B8: D86C1140 35000015
	s_waitcnt lgkmcnt(0)                                       // 0000000056C0: BF8CC07F
	s_mov_b32 s36, -1                                          // 0000000056C4: BEA400C1
	s_mov_b32 s37, -1                                          // 0000000056C8: BEA500C1
	v_mov_b32_e32 v7, 0                                        // 0000000056CC: 7E0E0280
	s_or_b32 s9, s9, 0x40000                                   // 0000000056D0: 8709FF09 00040000
	s_mov_b64 exec, s[36:37]                                   // 0000000056D8: BEFE0124
	v_mov_b32_e32 v6, v40                                      // 0000000056DC: 7E0C0328
	s_mov_b64 s[60:61], 0                                      // 0000000056E0: BEBC0180
	v_readlane_b32 s82, v3, 0                                  // 0000000056E4: D2890052 00010103
	s_and_b32 s82, s82, 0xffffff                               // 0000000056EC: 8652FF52 00FFFFFF
	s_cmp_lt_u32 s82, s66                                      // 0000000056F4: BF0A4252
	s_cselect_b32 s20, s36, s60                                // 0000000056F8: 85143C24
	v_readlane_b32 s82, v3, 1                                  // 0000000056FC: D2890052 00010303
	s_and_b32 s82, s82, 0xffffff                               // 000000005704: 8652FF52 00FFFFFF
	s_cmp_lt_u32 s82, s66                                      // 00000000570C: BF0A4252
	s_cselect_b32 s21, s36, s60                                // 000000005710: 85153C24
	s_mov_b64 exec, s[20:21]                                   // 000000005714: BEFE0114
	buffer_store_dword v48, v6, s[8:11], 0 offen               // 000000005718: E0701000 80023006
	s_mov_b64 exec, s[36:37]                                   // 000000005720: BEFE0124
	v_mov_b32_e32 v6, v41                                      // 000000005724: 7E0C0329
	s_mov_b64 s[60:61], 0                                      // 000000005728: BEBC0180
	v_readlane_b32 s82, v3, 2                                  // 00000000572C: D2890052 00010503
	s_and_b32 s82, s82, 0xffffff                               // 000000005734: 8652FF52 00FFFFFF
	s_cmp_lt_u32 s82, s66                                      // 00000000573C: BF0A4252
	s_cselect_b32 s20, s36, s60                                // 000000005740: 85143C24
	v_readlane_b32 s82, v3, 3                                  // 000000005744: D2890052 00010703
	s_and_b32 s82, s82, 0xffffff                               // 00000000574C: 8652FF52 00FFFFFF
	s_cmp_lt_u32 s82, s66                                      // 000000005754: BF0A4252
	s_cselect_b32 s21, s36, s60                                // 000000005758: 85153C24
	s_mov_b64 exec, s[20:21]                                   // 00000000575C: BEFE0114
	buffer_store_dword v49, v6, s[8:11], 0 offen               // 000000005760: E0701000 80023106
	s_mov_b64 exec, s[36:37]                                   // 000000005768: BEFE0124
	v_mov_b32_e32 v6, v42                                      // 00000000576C: 7E0C032A
	s_mov_b64 s[60:61], 0                                      // 000000005770: BEBC0180
	v_readlane_b32 s82, v3, 4                                  // 000000005774: D2890052 00010903
	s_and_b32 s82, s82, 0xffffff                               // 00000000577C: 8652FF52 00FFFFFF
	s_cmp_lt_u32 s82, s66                                      // 000000005784: BF0A4252
	s_cselect_b32 s20, s36, s60                                // 000000005788: 85143C24
	v_readlane_b32 s82, v3, 5                                  // 00000000578C: D2890052 00010B03
	s_and_b32 s82, s82, 0xffffff                               // 000000005794: 8652FF52 00FFFFFF
	s_cmp_lt_u32 s82, s66                                      // 00000000579C: BF0A4252
	s_cselect_b32 s21, s36, s60                                // 0000000057A0: 85153C24
	s_mov_b64 exec, s[20:21]                                   // 0000000057A4: BEFE0114
	buffer_store_dword v50, v6, s[8:11], 0 offen               // 0000000057A8: E0701000 80023206
	s_mov_b64 exec, s[36:37]                                   // 0000000057B0: BEFE0124
	v_mov_b32_e32 v6, v43                                      // 0000000057B4: 7E0C032B
	s_mov_b64 s[60:61], 0                                      // 0000000057B8: BEBC0180
	v_readlane_b32 s82, v3, 6                                  // 0000000057BC: D2890052 00010D03
	s_and_b32 s82, s82, 0xffffff                               // 0000000057C4: 8652FF52 00FFFFFF
	s_cmp_lt_u32 s82, s66                                      // 0000000057CC: BF0A4252
	s_cselect_b32 s20, s36, s60                                // 0000000057D0: 85143C24
	v_readlane_b32 s82, v3, 7                                  // 0000000057D4: D2890052 00010F03
	s_and_b32 s82, s82, 0xffffff                               // 0000000057DC: 8652FF52 00FFFFFF
	s_cmp_lt_u32 s82, s66                                      // 0000000057E4: BF0A4252
	s_cselect_b32 s21, s36, s60                                // 0000000057E8: 85153C24
	s_mov_b64 exec, s[20:21]                                   // 0000000057EC: BEFE0114
	buffer_store_dword v51, v6, s[8:11], 0 offen               // 0000000057F0: E0701000 80023306
	s_mov_b64 exec, s[36:37]                                   // 0000000057F8: BEFE0124
	v_mov_b32_e32 v6, v44                                      // 0000000057FC: 7E0C032C
	s_mov_b64 s[60:61], 0                                      // 000000005800: BEBC0180
	v_readlane_b32 s82, v3, 8                                  // 000000005804: D2890052 00011103
	s_and_b32 s82, s82, 0xffffff                               // 00000000580C: 8652FF52 00FFFFFF
	s_cmp_lt_u32 s82, s66                                      // 000000005814: BF0A4252
	s_cselect_b32 s20, s36, s60                                // 000000005818: 85143C24
	v_readlane_b32 s82, v3, 9                                  // 00000000581C: D2890052 00011303
	s_and_b32 s82, s82, 0xffffff                               // 000000005824: 8652FF52 00FFFFFF
	s_cmp_lt_u32 s82, s66                                      // 00000000582C: BF0A4252
	s_cselect_b32 s21, s36, s60                                // 000000005830: 85153C24
	s_mov_b64 exec, s[20:21]                                   // 000000005834: BEFE0114
	buffer_store_dword v52, v6, s[8:11], 0 offen               // 000000005838: E0701000 80023406
	s_mov_b64 exec, s[36:37]                                   // 000000005840: BEFE0124
	v_mov_b32_e32 v6, v45                                      // 000000005844: 7E0C032D
	s_mov_b64 s[60:61], 0                                      // 000000005848: BEBC0180
	v_readlane_b32 s82, v3, 10                                 // 00000000584C: D2890052 00011503
	s_and_b32 s82, s82, 0xffffff                               // 000000005854: 8652FF52 00FFFFFF
	s_cmp_lt_u32 s82, s66                                      // 00000000585C: BF0A4252
	s_cselect_b32 s20, s36, s60                                // 000000005860: 85143C24
	v_readlane_b32 s82, v3, 11                                 // 000000005864: D2890052 00011703
	s_and_b32 s82, s82, 0xffffff                               // 00000000586C: 8652FF52 00FFFFFF
	s_cmp_lt_u32 s82, s66                                      // 000000005874: BF0A4252
	s_cselect_b32 s21, s36, s60                                // 000000005878: 85153C24
	s_mov_b64 exec, s[20:21]                                   // 00000000587C: BEFE0114
	buffer_store_dword v53, v6, s[8:11], 0 offen               // 000000005880: E0701000 80023506
	s_mov_b64 exec, s[36:37]                                   // 000000005888: BEFE0124
	s_branch label_0E4D                                        // 00000000588C: BF8202A6

0000000000005890 <label_0BA7>:
	ds_write_b64 v20, v[48:49]                                 // 000000005890: D89A0000 00003014
	ds_write_b64 v20, v[52:53] offset:2176                     // 000000005898: D89A0880 00003414
	ds_write_b64 v20, v[56:57] offset:4352                     // 0000000058A0: D89A1100 00003814
	v_lshrrev_b32_e32 v4, 5, v0                                // 0000000058A8: 20080085
	v_xor_b32_e32 v5, 1, v4                                    // 0000000058AC: 2A0A0881
	s_mul_i32 s60, s65, 2                                      // 0000000058B0: 923C8241
	s_cmp_eq_u32 s88, 0                                        // 0000000058B4: BF068058
	s_cselect_b32 s61, 1, 4                                    // 0000000058B8: 853D8481
	s_mul_i32 s60, s61, s60                                    // 0000000058BC: 923C3C3D
	v_readlane_b32 s82, v3, 0                                  // 0000000058C0: D2890052 00010103
	s_lshr_b32 s61, s82, 24                                    // 0000000058C8: 8F3D9852
	s_and_b32 s82, s82, 0xffffff                               // 0000000058CC: 8652FF52 00FFFFFF
	s_mul_i32 s82, s82, s71                                    // 0000000058D4: 92524752
	s_mul_i32 s61, s60, s61                                    // 0000000058D8: 923D3D3C
	s_add_u32 s82, s82, s61                                    // 0000000058DC: 80523D52
	v_mul_lo_u32 v6, v5, s82                                   // 0000000058E0: D2850006 0000A505
	v_readlane_b32 s82, v3, 1                                  // 0000000058E8: D2890052 00010303
	s_lshr_b32 s61, s82, 24                                    // 0000000058F0: 8F3D9852
	s_and_b32 s82, s82, 0xffffff                               // 0000000058F4: 8652FF52 00FFFFFF
	s_mul_i32 s82, s82, s71                                    // 0000000058FC: 92524752
	s_mul_i32 s61, s60, s61                                    // 000000005900: 923D3D3C
	s_add_u32 s82, s82, s61                                    // 000000005904: 80523D52
	v_mul_lo_u32 v7, v4, s82                                   // 000000005908: D2850007 0000A504
	v_add_u32_e32 v40, v6, v7                                  // 000000005910: 68500F06
	v_readlane_b32 s82, v3, 2                                  // 000000005914: D2890052 00010503
	s_lshr_b32 s61, s82, 24                                    // 00000000591C: 8F3D9852
	s_and_b32 s82, s82, 0xffffff                               // 000000005920: 8652FF52 00FFFFFF
	s_mul_i32 s82, s82, s71                                    // 000000005928: 92524752
	s_mul_i32 s61, s60, s61                                    // 00000000592C: 923D3D3C
	s_add_u32 s82, s82, s61                                    // 000000005930: 80523D52
	v_mul_lo_u32 v6, v5, s82                                   // 000000005934: D2850006 0000A505
	v_readlane_b32 s82, v3, 3                                  // 00000000593C: D2890052 00010703
	s_lshr_b32 s61, s82, 24                                    // 000000005944: 8F3D9852
	s_and_b32 s82, s82, 0xffffff                               // 000000005948: 8652FF52 00FFFFFF
	s_mul_i32 s82, s82, s71                                    // 000000005950: 92524752
	s_mul_i32 s61, s60, s61                                    // 000000005954: 923D3D3C
	s_add_u32 s82, s82, s61                                    // 000000005958: 80523D52
	v_mul_lo_u32 v7, v4, s82                                   // 00000000595C: D2850007 0000A504
	v_add_u32_e32 v41, v6, v7                                  // 000000005964: 68520F06
	v_readlane_b32 s82, v3, 4                                  // 000000005968: D2890052 00010903
	s_lshr_b32 s61, s82, 24                                    // 000000005970: 8F3D9852
	s_and_b32 s82, s82, 0xffffff                               // 000000005974: 8652FF52 00FFFFFF
	s_mul_i32 s82, s82, s71                                    // 00000000597C: 92524752
	s_mul_i32 s61, s60, s61                                    // 000000005980: 923D3D3C
	s_add_u32 s82, s82, s61                                    // 000000005984: 80523D52
	v_mul_lo_u32 v6, v5, s82                                   // 000000005988: D2850006 0000A505
	v_readlane_b32 s82, v3, 5                                  // 000000005990: D2890052 00010B03
	s_lshr_b32 s61, s82, 24                                    // 000000005998: 8F3D9852
	s_and_b32 s82, s82, 0xffffff                               // 00000000599C: 8652FF52 00FFFFFF
	s_mul_i32 s82, s82, s71                                    // 0000000059A4: 92524752
	s_mul_i32 s61, s60, s61                                    // 0000000059A8: 923D3D3C
	s_add_u32 s82, s82, s61                                    // 0000000059AC: 80523D52
	v_mul_lo_u32 v7, v4, s82                                   // 0000000059B0: D2850007 0000A504
	v_add_u32_e32 v42, v6, v7                                  // 0000000059B8: 68540F06
	v_readlane_b32 s82, v3, 6                                  // 0000000059BC: D2890052 00010D03
	s_lshr_b32 s61, s82, 24                                    // 0000000059C4: 8F3D9852
	s_and_b32 s82, s82, 0xffffff                               // 0000000059C8: 8652FF52 00FFFFFF
	s_mul_i32 s82, s82, s71                                    // 0000000059D0: 92524752
	s_mul_i32 s61, s60, s61                                    // 0000000059D4: 923D3D3C
	s_add_u32 s82, s82, s61                                    // 0000000059D8: 80523D52
	v_mul_lo_u32 v6, v5, s82                                   // 0000000059DC: D2850006 0000A505
	v_readlane_b32 s82, v3, 7                                  // 0000000059E4: D2890052 00010F03
	s_lshr_b32 s61, s82, 24                                    // 0000000059EC: 8F3D9852
	s_and_b32 s82, s82, 0xffffff                               // 0000000059F0: 8652FF52 00FFFFFF
	s_mul_i32 s82, s82, s71                                    // 0000000059F8: 92524752
	s_mul_i32 s61, s60, s61                                    // 0000000059FC: 923D3D3C
	s_add_u32 s82, s82, s61                                    // 000000005A00: 80523D52
	v_mul_lo_u32 v7, v4, s82                                   // 000000005A04: D2850007 0000A504
	v_add_u32_e32 v43, v6, v7                                  // 000000005A0C: 68560F06
	v_readlane_b32 s82, v3, 8                                  // 000000005A10: D2890052 00011103
	s_lshr_b32 s61, s82, 24                                    // 000000005A18: 8F3D9852
	s_and_b32 s82, s82, 0xffffff                               // 000000005A1C: 8652FF52 00FFFFFF
	s_mul_i32 s82, s82, s71                                    // 000000005A24: 92524752
	s_mul_i32 s61, s60, s61                                    // 000000005A28: 923D3D3C
	s_add_u32 s82, s82, s61                                    // 000000005A2C: 80523D52
	v_mul_lo_u32 v6, v5, s82                                   // 000000005A30: D2850006 0000A505
	v_readlane_b32 s82, v3, 9                                  // 000000005A38: D2890052 00011303
	s_lshr_b32 s61, s82, 24                                    // 000000005A40: 8F3D9852
	s_and_b32 s82, s82, 0xffffff                               // 000000005A44: 8652FF52 00FFFFFF
	s_mul_i32 s82, s82, s71                                    // 000000005A4C: 92524752
	s_mul_i32 s61, s60, s61                                    // 000000005A50: 923D3D3C
	s_add_u32 s82, s82, s61                                    // 000000005A54: 80523D52
	v_mul_lo_u32 v7, v4, s82                                   // 000000005A58: D2850007 0000A504
	v_add_u32_e32 v44, v6, v7                                  // 000000005A60: 68580F06
	v_readlane_b32 s82, v3, 10                                 // 000000005A64: D2890052 00011503
	s_lshr_b32 s61, s82, 24                                    // 000000005A6C: 8F3D9852
	s_and_b32 s82, s82, 0xffffff                               // 000000005A70: 8652FF52 00FFFFFF
	s_mul_i32 s82, s82, s71                                    // 000000005A78: 92524752
	s_mul_i32 s61, s60, s61                                    // 000000005A7C: 923D3D3C
	s_add_u32 s82, s82, s61                                    // 000000005A80: 80523D52
	v_mul_lo_u32 v6, v5, s82                                   // 000000005A84: D2850006 0000A505
	v_readlane_b32 s82, v3, 11                                 // 000000005A8C: D2890052 00011703
	s_lshr_b32 s61, s82, 24                                    // 000000005A94: 8F3D9852
	s_and_b32 s82, s82, 0xffffff                               // 000000005A98: 8652FF52 00FFFFFF
	s_mul_i32 s82, s82, s71                                    // 000000005AA0: 92524752
	s_mul_i32 s61, s60, s61                                    // 000000005AA4: 923D3D3C
	s_add_u32 s82, s82, s61                                    // 000000005AA8: 80523D52
	v_mul_lo_u32 v7, v4, s82                                   // 000000005AAC: D2850007 0000A504
	v_add_u32_e32 v45, v6, v7                                  // 000000005AB4: 685A0F06
	v_and_b32_e32 v4, 31, v0                                   // 000000005AB8: 2608009F
	v_lshrrev_b32_e32 v4, 1, v4                                // 000000005ABC: 20080881
	s_cmp_eq_u32 s88, 0                                        // 000000005AC0: BF068058
	s_cselect_b32 s61, 2, 4                                    // 000000005AC4: 853D8482
	v_mul_lo_u32 v4, v4, s61                                   // 000000005AC8: D2850004 00007B04
	v_and_b32_e64 v5, v0, 1                                    // 000000005AD0: D1130005 00010300
	v_add_u32_e32 v4, v4, v5                                   // 000000005AD8: 68080B04
	v_lshlrev_b32_e32 v4, 2, v4                                // 000000005ADC: 24080882
	v_add_u32_e32 v40, v40, v4                                 // 000000005AE0: 68500928
	v_add_u32_e32 v41, v41, v4                                 // 000000005AE4: 68520929
	v_add_u32_e32 v42, v42, v4                                 // 000000005AE8: 6854092A
	v_add_u32_e32 v43, v43, v4                                 // 000000005AEC: 6856092B
	v_add_u32_e32 v44, v44, v4                                 // 000000005AF0: 6858092C
	v_add_u32_e32 v45, v45, v4                                 // 000000005AF4: 685A092D
	s_waitcnt lgkmcnt(0)                                       // 000000005AF8: BF8CC07F
	s_barrier                                                  // 000000005AFC: BF8A0000
	ds_read_b32 v48, v21                                       // 000000005B00: D86C0000 30000015
	ds_read_b32 v49, v21 offset:64                             // 000000005B08: D86C0040 31000015
	ds_read_b32 v52, v21 offset:2176                           // 000000005B10: D86C0880 34000015
	ds_read_b32 v53, v21 offset:2240                           // 000000005B18: D86C08C0 35000015
	ds_read_b32 v56, v21 offset:4352                           // 000000005B20: D86C1100 38000015
	ds_read_b32 v57, v21 offset:4416                           // 000000005B28: D86C1140 39000015
	s_waitcnt lgkmcnt(0)                                       // 000000005B30: BF8CC07F
	s_mov_b32 s36, -1                                          // 000000005B34: BEA400C1
	s_mov_b32 s37, -1                                          // 000000005B38: BEA500C1
	v_mov_b32_e32 v7, 0                                        // 000000005B3C: 7E0E0280
	s_mov_b64 exec, s[36:37]                                   // 000000005B40: BEFE0124
	v_mov_b32_e32 v6, v40                                      // 000000005B44: 7E0C0328
	s_mov_b64 s[60:61], 0                                      // 000000005B48: BEBC0180
	v_readlane_b32 s82, v3, 0                                  // 000000005B4C: D2890052 00010103
	s_and_b32 s82, s82, 0xffffff                               // 000000005B54: 8652FF52 00FFFFFF
	s_cmp_lt_u32 s82, s66                                      // 000000005B5C: BF0A4252
	s_cselect_b32 s20, s36, s60                                // 000000005B60: 85143C24
	v_readlane_b32 s82, v3, 1                                  // 000000005B64: D2890052 00010303
	s_and_b32 s82, s82, 0xffffff                               // 000000005B6C: 8652FF52 00FFFFFF
	s_cmp_lt_u32 s82, s66                                      // 000000005B74: BF0A4252
	s_cselect_b32 s21, s36, s60                                // 000000005B78: 85153C24
	s_mov_b64 exec, s[20:21]                                   // 000000005B7C: BEFE0114
	global_atomic_add_f32 v6, v48, s[8:9]                      // 000000005B80: DD348000 00083006
	s_mov_b64 exec, s[36:37]                                   // 000000005B88: BEFE0124
	v_mov_b32_e32 v6, v41                                      // 000000005B8C: 7E0C0329
	s_mov_b64 s[60:61], 0                                      // 000000005B90: BEBC0180
	v_readlane_b32 s82, v3, 2                                  // 000000005B94: D2890052 00010503
	s_and_b32 s82, s82, 0xffffff                               // 000000005B9C: 8652FF52 00FFFFFF
	s_cmp_lt_u32 s82, s66                                      // 000000005BA4: BF0A4252
	s_cselect_b32 s20, s36, s60                                // 000000005BA8: 85143C24
	v_readlane_b32 s82, v3, 3                                  // 000000005BAC: D2890052 00010703
	s_and_b32 s82, s82, 0xffffff                               // 000000005BB4: 8652FF52 00FFFFFF
	s_cmp_lt_u32 s82, s66                                      // 000000005BBC: BF0A4252
	s_cselect_b32 s21, s36, s60                                // 000000005BC0: 85153C24
	s_mov_b64 exec, s[20:21]                                   // 000000005BC4: BEFE0114
	global_atomic_add_f32 v6, v49, s[8:9]                      // 000000005BC8: DD348000 00083106
	s_mov_b64 exec, s[36:37]                                   // 000000005BD0: BEFE0124
	v_mov_b32_e32 v6, v42                                      // 000000005BD4: 7E0C032A
	s_mov_b64 s[60:61], 0                                      // 000000005BD8: BEBC0180
	v_readlane_b32 s82, v3, 4                                  // 000000005BDC: D2890052 00010903
	s_and_b32 s82, s82, 0xffffff                               // 000000005BE4: 8652FF52 00FFFFFF
	s_cmp_lt_u32 s82, s66                                      // 000000005BEC: BF0A4252
	s_cselect_b32 s20, s36, s60                                // 000000005BF0: 85143C24
	v_readlane_b32 s82, v3, 5                                  // 000000005BF4: D2890052 00010B03
	s_and_b32 s82, s82, 0xffffff                               // 000000005BFC: 8652FF52 00FFFFFF
	s_cmp_lt_u32 s82, s66                                      // 000000005C04: BF0A4252
	s_cselect_b32 s21, s36, s60                                // 000000005C08: 85153C24
	s_mov_b64 exec, s[20:21]                                   // 000000005C0C: BEFE0114
	global_atomic_add_f32 v6, v52, s[8:9]                      // 000000005C10: DD348000 00083406
	s_mov_b64 exec, s[36:37]                                   // 000000005C18: BEFE0124
	v_mov_b32_e32 v6, v43                                      // 000000005C1C: 7E0C032B
	s_mov_b64 s[60:61], 0                                      // 000000005C20: BEBC0180
	v_readlane_b32 s82, v3, 6                                  // 000000005C24: D2890052 00010D03
	s_and_b32 s82, s82, 0xffffff                               // 000000005C2C: 8652FF52 00FFFFFF
	s_cmp_lt_u32 s82, s66                                      // 000000005C34: BF0A4252
	s_cselect_b32 s20, s36, s60                                // 000000005C38: 85143C24
	v_readlane_b32 s82, v3, 7                                  // 000000005C3C: D2890052 00010F03
	s_and_b32 s82, s82, 0xffffff                               // 000000005C44: 8652FF52 00FFFFFF
	s_cmp_lt_u32 s82, s66                                      // 000000005C4C: BF0A4252
	s_cselect_b32 s21, s36, s60                                // 000000005C50: 85153C24
	s_mov_b64 exec, s[20:21]                                   // 000000005C54: BEFE0114
	global_atomic_add_f32 v6, v53, s[8:9]                      // 000000005C58: DD348000 00083506
	s_mov_b64 exec, s[36:37]                                   // 000000005C60: BEFE0124
	v_mov_b32_e32 v6, v44                                      // 000000005C64: 7E0C032C
	s_mov_b64 s[60:61], 0                                      // 000000005C68: BEBC0180
	v_readlane_b32 s82, v3, 8                                  // 000000005C6C: D2890052 00011103
	s_and_b32 s82, s82, 0xffffff                               // 000000005C74: 8652FF52 00FFFFFF
	s_cmp_lt_u32 s82, s66                                      // 000000005C7C: BF0A4252
	s_cselect_b32 s20, s36, s60                                // 000000005C80: 85143C24
	v_readlane_b32 s82, v3, 9                                  // 000000005C84: D2890052 00011303
	s_and_b32 s82, s82, 0xffffff                               // 000000005C8C: 8652FF52 00FFFFFF
	s_cmp_lt_u32 s82, s66                                      // 000000005C94: BF0A4252
	s_cselect_b32 s21, s36, s60                                // 000000005C98: 85153C24
	s_mov_b64 exec, s[20:21]                                   // 000000005C9C: BEFE0114
	global_atomic_add_f32 v6, v56, s[8:9]                      // 000000005CA0: DD348000 00083806
	s_mov_b64 exec, s[36:37]                                   // 000000005CA8: BEFE0124
	v_mov_b32_e32 v6, v45                                      // 000000005CAC: 7E0C032D
	s_mov_b64 s[60:61], 0                                      // 000000005CB0: BEBC0180
	v_readlane_b32 s82, v3, 10                                 // 000000005CB4: D2890052 00011503
	s_and_b32 s82, s82, 0xffffff                               // 000000005CBC: 8652FF52 00FFFFFF
	s_cmp_lt_u32 s82, s66                                      // 000000005CC4: BF0A4252
	s_cselect_b32 s20, s36, s60                                // 000000005CC8: 85143C24
	v_readlane_b32 s82, v3, 11                                 // 000000005CCC: D2890052 00011703
	s_and_b32 s82, s82, 0xffffff                               // 000000005CD4: 8652FF52 00FFFFFF
	s_cmp_lt_u32 s82, s66                                      // 000000005CDC: BF0A4252
	s_cselect_b32 s21, s36, s60                                // 000000005CE0: 85153C24
	s_mov_b64 exec, s[20:21]                                   // 000000005CE4: BEFE0114
	global_atomic_add_f32 v6, v57, s[8:9]                      // 000000005CE8: DD348000 00083906
	s_mov_b64 exec, s[36:37]                                   // 000000005CF0: BEFE0124
	ds_write_b64 v20, v[50:51]                                 // 000000005CF4: D89A0000 00003214
	ds_write_b64 v20, v[54:55] offset:2176                     // 000000005CFC: D89A0880 00003614
	ds_write_b64 v20, v[58:59] offset:4352                     // 000000005D04: D89A1100 00003A14
	s_waitcnt lgkmcnt(0)                                       // 000000005D0C: BF8CC07F
	s_barrier                                                  // 000000005D10: BF8A0000
	ds_read_b32 v50, v21                                       // 000000005D14: D86C0000 32000015
	ds_read_b32 v51, v21 offset:64                             // 000000005D1C: D86C0040 33000015
	ds_read_b32 v54, v21 offset:2176                           // 000000005D24: D86C0880 36000015
	ds_read_b32 v55, v21 offset:2240                           // 000000005D2C: D86C08C0 37000015
	ds_read_b32 v58, v21 offset:4352                           // 000000005D34: D86C1100 3A000015
	ds_read_b32 v59, v21 offset:4416                           // 000000005D3C: D86C1140 3B000015
	s_waitcnt lgkmcnt(0)                                       // 000000005D44: BF8CC07F
	v_mov_b32_e32 v7, 0                                        // 000000005D48: 7E0E0280
	s_mov_b64 exec, s[36:37]                                   // 000000005D4C: BEFE0124
	v_mov_b32_e32 v6, v40                                      // 000000005D50: 7E0C0328
	s_mov_b64 s[60:61], 0                                      // 000000005D54: BEBC0180
	v_readlane_b32 s82, v3, 0                                  // 000000005D58: D2890052 00010103
	s_and_b32 s82, s82, 0xffffff                               // 000000005D60: 8652FF52 00FFFFFF
	s_cmp_lt_u32 s82, s66                                      // 000000005D68: BF0A4252
	s_cselect_b32 s20, s36, s60                                // 000000005D6C: 85143C24
	v_readlane_b32 s82, v3, 1                                  // 000000005D70: D2890052 00010303
	s_and_b32 s82, s82, 0xffffff                               // 000000005D78: 8652FF52 00FFFFFF
	s_cmp_lt_u32 s82, s66                                      // 000000005D80: BF0A4252
	s_cselect_b32 s21, s36, s60                                // 000000005D84: 85153C24
	s_mov_b64 exec, s[20:21]                                   // 000000005D88: BEFE0114
	global_atomic_add_f32 v6, v50, s[8:9] offset:8             // 000000005D8C: DD348008 00083206
	s_mov_b64 exec, s[36:37]                                   // 000000005D94: BEFE0124
	v_mov_b32_e32 v6, v41                                      // 000000005D98: 7E0C0329
	s_mov_b64 s[60:61], 0                                      // 000000005D9C: BEBC0180
	v_readlane_b32 s82, v3, 2                                  // 000000005DA0: D2890052 00010503
	s_and_b32 s82, s82, 0xffffff                               // 000000005DA8: 8652FF52 00FFFFFF
	s_cmp_lt_u32 s82, s66                                      // 000000005DB0: BF0A4252
	s_cselect_b32 s20, s36, s60                                // 000000005DB4: 85143C24
	v_readlane_b32 s82, v3, 3                                  // 000000005DB8: D2890052 00010703
	s_and_b32 s82, s82, 0xffffff                               // 000000005DC0: 8652FF52 00FFFFFF
	s_cmp_lt_u32 s82, s66                                      // 000000005DC8: BF0A4252
	s_cselect_b32 s21, s36, s60                                // 000000005DCC: 85153C24
	s_mov_b64 exec, s[20:21]                                   // 000000005DD0: BEFE0114
	global_atomic_add_f32 v6, v51, s[8:9] offset:8             // 000000005DD4: DD348008 00083306
	s_mov_b64 exec, s[36:37]                                   // 000000005DDC: BEFE0124
	v_mov_b32_e32 v6, v42                                      // 000000005DE0: 7E0C032A
	s_mov_b64 s[60:61], 0                                      // 000000005DE4: BEBC0180
	v_readlane_b32 s82, v3, 4                                  // 000000005DE8: D2890052 00010903
	s_and_b32 s82, s82, 0xffffff                               // 000000005DF0: 8652FF52 00FFFFFF
	s_cmp_lt_u32 s82, s66                                      // 000000005DF8: BF0A4252
	s_cselect_b32 s20, s36, s60                                // 000000005DFC: 85143C24
	v_readlane_b32 s82, v3, 5                                  // 000000005E00: D2890052 00010B03
	s_and_b32 s82, s82, 0xffffff                               // 000000005E08: 8652FF52 00FFFFFF
	s_cmp_lt_u32 s82, s66                                      // 000000005E10: BF0A4252
	s_cselect_b32 s21, s36, s60                                // 000000005E14: 85153C24
	s_mov_b64 exec, s[20:21]                                   // 000000005E18: BEFE0114
	global_atomic_add_f32 v6, v54, s[8:9] offset:8             // 000000005E1C: DD348008 00083606
	s_mov_b64 exec, s[36:37]                                   // 000000005E24: BEFE0124
	v_mov_b32_e32 v6, v43                                      // 000000005E28: 7E0C032B
	s_mov_b64 s[60:61], 0                                      // 000000005E2C: BEBC0180
	v_readlane_b32 s82, v3, 6                                  // 000000005E30: D2890052 00010D03
	s_and_b32 s82, s82, 0xffffff                               // 000000005E38: 8652FF52 00FFFFFF
	s_cmp_lt_u32 s82, s66                                      // 000000005E40: BF0A4252
	s_cselect_b32 s20, s36, s60                                // 000000005E44: 85143C24
	v_readlane_b32 s82, v3, 7                                  // 000000005E48: D2890052 00010F03
	s_and_b32 s82, s82, 0xffffff                               // 000000005E50: 8652FF52 00FFFFFF
	s_cmp_lt_u32 s82, s66                                      // 000000005E58: BF0A4252
	s_cselect_b32 s21, s36, s60                                // 000000005E5C: 85153C24
	s_mov_b64 exec, s[20:21]                                   // 000000005E60: BEFE0114
	global_atomic_add_f32 v6, v55, s[8:9] offset:8             // 000000005E64: DD348008 00083706
	s_mov_b64 exec, s[36:37]                                   // 000000005E6C: BEFE0124
	v_mov_b32_e32 v6, v44                                      // 000000005E70: 7E0C032C
	s_mov_b64 s[60:61], 0                                      // 000000005E74: BEBC0180
	v_readlane_b32 s82, v3, 8                                  // 000000005E78: D2890052 00011103
	s_and_b32 s82, s82, 0xffffff                               // 000000005E80: 8652FF52 00FFFFFF
	s_cmp_lt_u32 s82, s66                                      // 000000005E88: BF0A4252
	s_cselect_b32 s20, s36, s60                                // 000000005E8C: 85143C24
	v_readlane_b32 s82, v3, 9                                  // 000000005E90: D2890052 00011303
	s_and_b32 s82, s82, 0xffffff                               // 000000005E98: 8652FF52 00FFFFFF
	s_cmp_lt_u32 s82, s66                                      // 000000005EA0: BF0A4252
	s_cselect_b32 s21, s36, s60                                // 000000005EA4: 85153C24
	s_mov_b64 exec, s[20:21]                                   // 000000005EA8: BEFE0114
	global_atomic_add_f32 v6, v58, s[8:9] offset:8             // 000000005EAC: DD348008 00083A06
	s_mov_b64 exec, s[36:37]                                   // 000000005EB4: BEFE0124
	v_mov_b32_e32 v6, v45                                      // 000000005EB8: 7E0C032D
	s_mov_b64 s[60:61], 0                                      // 000000005EBC: BEBC0180
	v_readlane_b32 s82, v3, 10                                 // 000000005EC0: D2890052 00011503
	s_and_b32 s82, s82, 0xffffff                               // 000000005EC8: 8652FF52 00FFFFFF
	s_cmp_lt_u32 s82, s66                                      // 000000005ED0: BF0A4252
	s_cselect_b32 s20, s36, s60                                // 000000005ED4: 85143C24
	v_readlane_b32 s82, v3, 11                                 // 000000005ED8: D2890052 00011703
	s_and_b32 s82, s82, 0xffffff                               // 000000005EE0: 8652FF52 00FFFFFF
	s_cmp_lt_u32 s82, s66                                      // 000000005EE8: BF0A4252
	s_cselect_b32 s21, s36, s60                                // 000000005EEC: 85153C24
	s_mov_b64 exec, s[20:21]                                   // 000000005EF0: BEFE0114
	global_atomic_add_f32 v6, v59, s[8:9] offset:8             // 000000005EF4: DD348008 00083B06
	s_mov_b64 exec, s[36:37]                                   // 000000005EFC: BEFE0124
	ds_write_b64 v20, v[60:61]                                 // 000000005F00: D89A0000 00003C14
	ds_write_b64 v20, v[64:65] offset:2176                     // 000000005F08: D89A0880 00004014
	ds_write_b64 v20, v[68:69] offset:4352                     // 000000005F10: D89A1100 00004414
	s_waitcnt lgkmcnt(0)                                       // 000000005F18: BF8CC07F
	s_barrier                                                  // 000000005F1C: BF8A0000
	ds_read_b32 v60, v21                                       // 000000005F20: D86C0000 3C000015
	ds_read_b32 v61, v21 offset:64                             // 000000005F28: D86C0040 3D000015
	ds_read_b32 v64, v21 offset:2176                           // 000000005F30: D86C0880 40000015
	ds_read_b32 v65, v21 offset:2240                           // 000000005F38: D86C08C0 41000015
	ds_read_b32 v68, v21 offset:4352                           // 000000005F40: D86C1100 44000015
	ds_read_b32 v69, v21 offset:4416                           // 000000005F48: D86C1140 45000015
	s_mul_i32 s60, s65, 4                                      // 000000005F50: 923C8441
	s_add_u32 s8, s60, s8                                      // 000000005F54: 8008083C
	s_addc_u32 s9, 0, s9                                       // 000000005F58: 82090980
	s_waitcnt lgkmcnt(0)                                       // 000000005F5C: BF8CC07F
	v_mov_b32_e32 v7, 0                                        // 000000005F60: 7E0E0280
	s_mov_b64 exec, s[36:37]                                   // 000000005F64: BEFE0124
	v_mov_b32_e32 v6, v40                                      // 000000005F68: 7E0C0328
	s_mov_b64 s[60:61], 0                                      // 000000005F6C: BEBC0180
	v_readlane_b32 s82, v3, 0                                  // 000000005F70: D2890052 00010103
	s_and_b32 s82, s82, 0xffffff                               // 000000005F78: 8652FF52 00FFFFFF
	s_cmp_lt_u32 s82, s66                                      // 000000005F80: BF0A4252
	s_cselect_b32 s20, s36, s60                                // 000000005F84: 85143C24
	v_readlane_b32 s82, v3, 1                                  // 000000005F88: D2890052 00010303
	s_and_b32 s82, s82, 0xffffff                               // 000000005F90: 8652FF52 00FFFFFF
	s_cmp_lt_u32 s82, s66                                      // 000000005F98: BF0A4252
	s_cselect_b32 s21, s36, s60                                // 000000005F9C: 85153C24
	s_mov_b64 exec, s[20:21]                                   // 000000005FA0: BEFE0114
	global_atomic_add_f32 v6, v60, s[8:9]                      // 000000005FA4: DD348000 00083C06
	s_mov_b64 exec, s[36:37]                                   // 000000005FAC: BEFE0124
	v_mov_b32_e32 v6, v41                                      // 000000005FB0: 7E0C0329
	s_mov_b64 s[60:61], 0                                      // 000000005FB4: BEBC0180
	v_readlane_b32 s82, v3, 2                                  // 000000005FB8: D2890052 00010503
	s_and_b32 s82, s82, 0xffffff                               // 000000005FC0: 8652FF52 00FFFFFF
	s_cmp_lt_u32 s82, s66                                      // 000000005FC8: BF0A4252
	s_cselect_b32 s20, s36, s60                                // 000000005FCC: 85143C24
	v_readlane_b32 s82, v3, 3                                  // 000000005FD0: D2890052 00010703
	s_and_b32 s82, s82, 0xffffff                               // 000000005FD8: 8652FF52 00FFFFFF
	s_cmp_lt_u32 s82, s66                                      // 000000005FE0: BF0A4252
	s_cselect_b32 s21, s36, s60                                // 000000005FE4: 85153C24
	s_mov_b64 exec, s[20:21]                                   // 000000005FE8: BEFE0114
	global_atomic_add_f32 v6, v61, s[8:9]                      // 000000005FEC: DD348000 00083D06
	s_mov_b64 exec, s[36:37]                                   // 000000005FF4: BEFE0124
	v_mov_b32_e32 v6, v42                                      // 000000005FF8: 7E0C032A
	s_mov_b64 s[60:61], 0                                      // 000000005FFC: BEBC0180
	v_readlane_b32 s82, v3, 4                                  // 000000006000: D2890052 00010903
	s_and_b32 s82, s82, 0xffffff                               // 000000006008: 8652FF52 00FFFFFF
	s_cmp_lt_u32 s82, s66                                      // 000000006010: BF0A4252
	s_cselect_b32 s20, s36, s60                                // 000000006014: 85143C24
	v_readlane_b32 s82, v3, 5                                  // 000000006018: D2890052 00010B03
	s_and_b32 s82, s82, 0xffffff                               // 000000006020: 8652FF52 00FFFFFF
	s_cmp_lt_u32 s82, s66                                      // 000000006028: BF0A4252
	s_cselect_b32 s21, s36, s60                                // 00000000602C: 85153C24
	s_mov_b64 exec, s[20:21]                                   // 000000006030: BEFE0114
	global_atomic_add_f32 v6, v64, s[8:9]                      // 000000006034: DD348000 00084006
	s_mov_b64 exec, s[36:37]                                   // 00000000603C: BEFE0124
	v_mov_b32_e32 v6, v43                                      // 000000006040: 7E0C032B
	s_mov_b64 s[60:61], 0                                      // 000000006044: BEBC0180
	v_readlane_b32 s82, v3, 6                                  // 000000006048: D2890052 00010D03
	s_and_b32 s82, s82, 0xffffff                               // 000000006050: 8652FF52 00FFFFFF
	s_cmp_lt_u32 s82, s66                                      // 000000006058: BF0A4252
	s_cselect_b32 s20, s36, s60                                // 00000000605C: 85143C24
	v_readlane_b32 s82, v3, 7                                  // 000000006060: D2890052 00010F03
	s_and_b32 s82, s82, 0xffffff                               // 000000006068: 8652FF52 00FFFFFF
	s_cmp_lt_u32 s82, s66                                      // 000000006070: BF0A4252
	s_cselect_b32 s21, s36, s60                                // 000000006074: 85153C24
	s_mov_b64 exec, s[20:21]                                   // 000000006078: BEFE0114
	global_atomic_add_f32 v6, v65, s[8:9]                      // 00000000607C: DD348000 00084106
	s_mov_b64 exec, s[36:37]                                   // 000000006084: BEFE0124
	v_mov_b32_e32 v6, v44                                      // 000000006088: 7E0C032C
	s_mov_b64 s[60:61], 0                                      // 00000000608C: BEBC0180
	v_readlane_b32 s82, v3, 8                                  // 000000006090: D2890052 00011103
	s_and_b32 s82, s82, 0xffffff                               // 000000006098: 8652FF52 00FFFFFF
	s_cmp_lt_u32 s82, s66                                      // 0000000060A0: BF0A4252
	s_cselect_b32 s20, s36, s60                                // 0000000060A4: 85143C24
	v_readlane_b32 s82, v3, 9                                  // 0000000060A8: D2890052 00011303
	s_and_b32 s82, s82, 0xffffff                               // 0000000060B0: 8652FF52 00FFFFFF
	s_cmp_lt_u32 s82, s66                                      // 0000000060B8: BF0A4252
	s_cselect_b32 s21, s36, s60                                // 0000000060BC: 85153C24
	s_mov_b64 exec, s[20:21]                                   // 0000000060C0: BEFE0114
	global_atomic_add_f32 v6, v68, s[8:9]                      // 0000000060C4: DD348000 00084406
	s_mov_b64 exec, s[36:37]                                   // 0000000060CC: BEFE0124
	v_mov_b32_e32 v6, v45                                      // 0000000060D0: 7E0C032D
	s_mov_b64 s[60:61], 0                                      // 0000000060D4: BEBC0180
	v_readlane_b32 s82, v3, 10                                 // 0000000060D8: D2890052 00011503
	s_and_b32 s82, s82, 0xffffff                               // 0000000060E0: 8652FF52 00FFFFFF
	s_cmp_lt_u32 s82, s66                                      // 0000000060E8: BF0A4252
	s_cselect_b32 s20, s36, s60                                // 0000000060EC: 85143C24
	v_readlane_b32 s82, v3, 11                                 // 0000000060F0: D2890052 00011703
	s_and_b32 s82, s82, 0xffffff                               // 0000000060F8: 8652FF52 00FFFFFF
	s_cmp_lt_u32 s82, s66                                      // 000000006100: BF0A4252
	s_cselect_b32 s21, s36, s60                                // 000000006104: 85153C24
	s_mov_b64 exec, s[20:21]                                   // 000000006108: BEFE0114
	global_atomic_add_f32 v6, v69, s[8:9]                      // 00000000610C: DD348000 00084506
	s_mov_b64 exec, s[36:37]                                   // 000000006114: BEFE0124
	ds_write_b64 v20, v[62:63]                                 // 000000006118: D89A0000 00003E14
	ds_write_b64 v20, v[66:67] offset:2176                     // 000000006120: D89A0880 00004214
	ds_write_b64 v20, v[70:71] offset:4352                     // 000000006128: D89A1100 00004614
	s_waitcnt lgkmcnt(0)                                       // 000000006130: BF8CC07F
	s_barrier                                                  // 000000006134: BF8A0000
	ds_read_b32 v62, v21                                       // 000000006138: D86C0000 3E000015
	ds_read_b32 v63, v21 offset:64                             // 000000006140: D86C0040 3F000015
	ds_read_b32 v66, v21 offset:2176                           // 000000006148: D86C0880 42000015
	ds_read_b32 v67, v21 offset:2240                           // 000000006150: D86C08C0 43000015
	ds_read_b32 v70, v21 offset:4352                           // 000000006158: D86C1100 46000015
	ds_read_b32 v71, v21 offset:4416                           // 000000006160: D86C1140 47000015
	s_waitcnt lgkmcnt(0)                                       // 000000006168: BF8CC07F
	v_mov_b32_e32 v7, 0                                        // 00000000616C: 7E0E0280
	s_mov_b64 exec, s[36:37]                                   // 000000006170: BEFE0124
	v_mov_b32_e32 v6, v40                                      // 000000006174: 7E0C0328
	s_mov_b64 s[60:61], 0                                      // 000000006178: BEBC0180
	v_readlane_b32 s82, v3, 0                                  // 00000000617C: D2890052 00010103
	s_and_b32 s82, s82, 0xffffff                               // 000000006184: 8652FF52 00FFFFFF
	s_cmp_lt_u32 s82, s66                                      // 00000000618C: BF0A4252
	s_cselect_b32 s20, s36, s60                                // 000000006190: 85143C24
	v_readlane_b32 s82, v3, 1                                  // 000000006194: D2890052 00010303
	s_and_b32 s82, s82, 0xffffff                               // 00000000619C: 8652FF52 00FFFFFF
	s_cmp_lt_u32 s82, s66                                      // 0000000061A4: BF0A4252
	s_cselect_b32 s21, s36, s60                                // 0000000061A8: 85153C24
	s_mov_b64 exec, s[20:21]                                   // 0000000061AC: BEFE0114
	global_atomic_add_f32 v6, v62, s[8:9] offset:8             // 0000000061B0: DD348008 00083E06
	s_mov_b64 exec, s[36:37]                                   // 0000000061B8: BEFE0124
	v_mov_b32_e32 v6, v41                                      // 0000000061BC: 7E0C0329
	s_mov_b64 s[60:61], 0                                      // 0000000061C0: BEBC0180
	v_readlane_b32 s82, v3, 2                                  // 0000000061C4: D2890052 00010503
	s_and_b32 s82, s82, 0xffffff                               // 0000000061CC: 8652FF52 00FFFFFF
	s_cmp_lt_u32 s82, s66                                      // 0000000061D4: BF0A4252
	s_cselect_b32 s20, s36, s60                                // 0000000061D8: 85143C24
	v_readlane_b32 s82, v3, 3                                  // 0000000061DC: D2890052 00010703
	s_and_b32 s82, s82, 0xffffff                               // 0000000061E4: 8652FF52 00FFFFFF
	s_cmp_lt_u32 s82, s66                                      // 0000000061EC: BF0A4252
	s_cselect_b32 s21, s36, s60                                // 0000000061F0: 85153C24
	s_mov_b64 exec, s[20:21]                                   // 0000000061F4: BEFE0114
	global_atomic_add_f32 v6, v63, s[8:9] offset:8             // 0000000061F8: DD348008 00083F06
	s_mov_b64 exec, s[36:37]                                   // 000000006200: BEFE0124
	v_mov_b32_e32 v6, v42                                      // 000000006204: 7E0C032A
	s_mov_b64 s[60:61], 0                                      // 000000006208: BEBC0180
	v_readlane_b32 s82, v3, 4                                  // 00000000620C: D2890052 00010903
	s_and_b32 s82, s82, 0xffffff                               // 000000006214: 8652FF52 00FFFFFF
	s_cmp_lt_u32 s82, s66                                      // 00000000621C: BF0A4252
	s_cselect_b32 s20, s36, s60                                // 000000006220: 85143C24
	v_readlane_b32 s82, v3, 5                                  // 000000006224: D2890052 00010B03
	s_and_b32 s82, s82, 0xffffff                               // 00000000622C: 8652FF52 00FFFFFF
	s_cmp_lt_u32 s82, s66                                      // 000000006234: BF0A4252
	s_cselect_b32 s21, s36, s60                                // 000000006238: 85153C24
	s_mov_b64 exec, s[20:21]                                   // 00000000623C: BEFE0114
	global_atomic_add_f32 v6, v66, s[8:9] offset:8             // 000000006240: DD348008 00084206
	s_mov_b64 exec, s[36:37]                                   // 000000006248: BEFE0124
	v_mov_b32_e32 v6, v43                                      // 00000000624C: 7E0C032B
	s_mov_b64 s[60:61], 0                                      // 000000006250: BEBC0180
	v_readlane_b32 s82, v3, 6                                  // 000000006254: D2890052 00010D03
	s_and_b32 s82, s82, 0xffffff                               // 00000000625C: 8652FF52 00FFFFFF
	s_cmp_lt_u32 s82, s66                                      // 000000006264: BF0A4252
	s_cselect_b32 s20, s36, s60                                // 000000006268: 85143C24
	v_readlane_b32 s82, v3, 7                                  // 00000000626C: D2890052 00010F03
	s_and_b32 s82, s82, 0xffffff                               // 000000006274: 8652FF52 00FFFFFF
	s_cmp_lt_u32 s82, s66                                      // 00000000627C: BF0A4252
	s_cselect_b32 s21, s36, s60                                // 000000006280: 85153C24
	s_mov_b64 exec, s[20:21]                                   // 000000006284: BEFE0114
	global_atomic_add_f32 v6, v67, s[8:9] offset:8             // 000000006288: DD348008 00084306
	s_mov_b64 exec, s[36:37]                                   // 000000006290: BEFE0124
	v_mov_b32_e32 v6, v44                                      // 000000006294: 7E0C032C
	s_mov_b64 s[60:61], 0                                      // 000000006298: BEBC0180
	v_readlane_b32 s82, v3, 8                                  // 00000000629C: D2890052 00011103
	s_and_b32 s82, s82, 0xffffff                               // 0000000062A4: 8652FF52 00FFFFFF
	s_cmp_lt_u32 s82, s66                                      // 0000000062AC: BF0A4252
	s_cselect_b32 s20, s36, s60                                // 0000000062B0: 85143C24
	v_readlane_b32 s82, v3, 9                                  // 0000000062B4: D2890052 00011303
	s_and_b32 s82, s82, 0xffffff                               // 0000000062BC: 8652FF52 00FFFFFF
	s_cmp_lt_u32 s82, s66                                      // 0000000062C4: BF0A4252
	s_cselect_b32 s21, s36, s60                                // 0000000062C8: 85153C24
	s_mov_b64 exec, s[20:21]                                   // 0000000062CC: BEFE0114
	global_atomic_add_f32 v6, v70, s[8:9] offset:8             // 0000000062D0: DD348008 00084606
	s_mov_b64 exec, s[36:37]                                   // 0000000062D8: BEFE0124
	v_mov_b32_e32 v6, v45                                      // 0000000062DC: 7E0C032D
	s_mov_b64 s[60:61], 0                                      // 0000000062E0: BEBC0180
	v_readlane_b32 s82, v3, 10                                 // 0000000062E4: D2890052 00011503
	s_and_b32 s82, s82, 0xffffff                               // 0000000062EC: 8652FF52 00FFFFFF
	s_cmp_lt_u32 s82, s66                                      // 0000000062F4: BF0A4252
	s_cselect_b32 s20, s36, s60                                // 0000000062F8: 85143C24
	v_readlane_b32 s82, v3, 11                                 // 0000000062FC: D2890052 00011703
	s_and_b32 s82, s82, 0xffffff                               // 000000006304: 8652FF52 00FFFFFF
	s_cmp_lt_u32 s82, s66                                      // 00000000630C: BF0A4252
	s_cselect_b32 s21, s36, s60                                // 000000006310: 85153C24
	s_mov_b64 exec, s[20:21]                                   // 000000006314: BEFE0114
	global_atomic_add_f32 v6, v71, s[8:9] offset:8             // 000000006318: DD348008 00084706
	s_mov_b64 exec, s[36:37]                                   // 000000006320: BEFE0124
	s_branch label_0E4D                                        // 000000006324: BF820000

0000000000006328 <label_0E4D>:
	s_waitcnt vmcnt(0) expcnt(0) lgkmcnt(0)                    // 000000006328: BF8C0000
	s_endpgm                                                   // 00000000632C: BF810000
